;; amdgpu-corpus repo=ROCm/rocSOLVER kind=compiled arch=gfx906 opt=O3
	.amdgcn_target "amdgcn-amd-amdhsa--gfx906"
	.amdhsa_code_object_version 6
	.section	.text._ZN9rocsolver6v33100L8set_zeroIfPfEEviiT0_iil13rocblas_fill_,"axG",@progbits,_ZN9rocsolver6v33100L8set_zeroIfPfEEviiT0_iil13rocblas_fill_,comdat
	.globl	_ZN9rocsolver6v33100L8set_zeroIfPfEEviiT0_iil13rocblas_fill_ ; -- Begin function _ZN9rocsolver6v33100L8set_zeroIfPfEEviiT0_iil13rocblas_fill_
	.p2align	8
	.type	_ZN9rocsolver6v33100L8set_zeroIfPfEEviiT0_iil13rocblas_fill_,@function
_ZN9rocsolver6v33100L8set_zeroIfPfEEviiT0_iil13rocblas_fill_: ; @_ZN9rocsolver6v33100L8set_zeroIfPfEEviiT0_iil13rocblas_fill_
; %bb.0:
	s_load_dword s2, s[4:5], 0x34
	s_load_dwordx2 s[0:1], s[4:5], 0x0
	s_waitcnt lgkmcnt(0)
	s_lshr_b32 s3, s2, 16
	s_and_b32 s2, s2, 0xffff
	s_mul_i32 s6, s6, s2
	s_mul_i32 s7, s7, s3
	v_add_u32_e32 v0, s6, v0
	v_add_u32_e32 v1, s7, v1
	v_cmp_gt_u32_e32 vcc, s0, v0
	v_cmp_gt_u32_e64 s[0:1], s1, v1
	s_and_b64 s[0:1], vcc, s[0:1]
	s_and_saveexec_b64 s[2:3], s[0:1]
	s_cbranch_execz .LBB0_12
; %bb.1:
	s_load_dword s6, s[4:5], 0x20
	s_waitcnt lgkmcnt(0)
	s_cmpk_lt_i32 s6, 0x7a
	s_cbranch_scc1 .LBB0_4
; %bb.2:
	s_cmpk_gt_i32 s6, 0x7a
	s_cbranch_scc0 .LBB0_5
; %bb.3:
	s_cmpk_eq_i32 s6, 0x7b
	s_cselect_b64 s[0:1], -1, 0
	s_cbranch_execz .LBB0_6
	s_branch .LBB0_7
.LBB0_4:
	s_mov_b64 s[0:1], 0
	s_cbranch_execnz .LBB0_8
	s_branch .LBB0_10
.LBB0_5:
	s_mov_b64 s[0:1], 0
.LBB0_6:
	v_cmp_gt_u32_e32 vcc, v1, v0
	s_andn2_b64 s[0:1], s[0:1], exec
	s_and_b64 s[2:3], vcc, exec
	s_or_b64 s[0:1], s[0:1], s[2:3]
.LBB0_7:
	s_branch .LBB0_10
.LBB0_8:
	s_cmpk_eq_i32 s6, 0x79
	s_cbranch_scc0 .LBB0_10
; %bb.9:
	v_cmp_gt_u32_e32 vcc, v0, v1
	s_andn2_b64 s[0:1], s[0:1], exec
	s_and_b64 s[2:3], vcc, exec
	s_or_b64 s[0:1], s[0:1], s[2:3]
.LBB0_10:
	s_and_b64 exec, exec, s[0:1]
	s_cbranch_execz .LBB0_12
; %bb.11:
	s_load_dwordx4 s[0:3], s[4:5], 0x8
	s_load_dwordx2 s[6:7], s[4:5], 0x18
	s_waitcnt lgkmcnt(0)
	s_ashr_i32 s5, s2, 31
	s_mov_b32 s4, s2
	s_mul_i32 s2, s7, s8
	s_mul_hi_u32 s7, s6, s8
	s_add_i32 s7, s7, s2
	s_mul_i32 s6, s6, s8
	v_mad_u64_u32 v[0:1], s[2:3], v1, s3, v[0:1]
	s_lshl_b64 s[6:7], s[6:7], 2
	s_add_u32 s6, s0, s6
	s_addc_u32 s7, s1, s7
	s_lshl_b64 s[0:1], s[4:5], 2
	v_mov_b32_e32 v1, 0
	s_add_u32 s0, s6, s0
	v_lshlrev_b64 v[2:3], 2, v[0:1]
	s_addc_u32 s1, s7, s1
	v_mov_b32_e32 v0, s1
	v_add_co_u32_e32 v2, vcc, s0, v2
	v_addc_co_u32_e32 v3, vcc, v0, v3, vcc
	global_store_dword v[2:3], v1, off
.LBB0_12:
	s_endpgm
	.section	.rodata,"a",@progbits
	.p2align	6, 0x0
	.amdhsa_kernel _ZN9rocsolver6v33100L8set_zeroIfPfEEviiT0_iil13rocblas_fill_
		.amdhsa_group_segment_fixed_size 0
		.amdhsa_private_segment_fixed_size 0
		.amdhsa_kernarg_size 296
		.amdhsa_user_sgpr_count 6
		.amdhsa_user_sgpr_private_segment_buffer 1
		.amdhsa_user_sgpr_dispatch_ptr 0
		.amdhsa_user_sgpr_queue_ptr 0
		.amdhsa_user_sgpr_kernarg_segment_ptr 1
		.amdhsa_user_sgpr_dispatch_id 0
		.amdhsa_user_sgpr_flat_scratch_init 0
		.amdhsa_user_sgpr_private_segment_size 0
		.amdhsa_uses_dynamic_stack 0
		.amdhsa_system_sgpr_private_segment_wavefront_offset 0
		.amdhsa_system_sgpr_workgroup_id_x 1
		.amdhsa_system_sgpr_workgroup_id_y 1
		.amdhsa_system_sgpr_workgroup_id_z 1
		.amdhsa_system_sgpr_workgroup_info 0
		.amdhsa_system_vgpr_workitem_id 1
		.amdhsa_next_free_vgpr 4
		.amdhsa_next_free_sgpr 9
		.amdhsa_reserve_vcc 1
		.amdhsa_reserve_flat_scratch 0
		.amdhsa_float_round_mode_32 0
		.amdhsa_float_round_mode_16_64 0
		.amdhsa_float_denorm_mode_32 3
		.amdhsa_float_denorm_mode_16_64 3
		.amdhsa_dx10_clamp 1
		.amdhsa_ieee_mode 1
		.amdhsa_fp16_overflow 0
		.amdhsa_exception_fp_ieee_invalid_op 0
		.amdhsa_exception_fp_denorm_src 0
		.amdhsa_exception_fp_ieee_div_zero 0
		.amdhsa_exception_fp_ieee_overflow 0
		.amdhsa_exception_fp_ieee_underflow 0
		.amdhsa_exception_fp_ieee_inexact 0
		.amdhsa_exception_int_div_zero 0
	.end_amdhsa_kernel
	.section	.text._ZN9rocsolver6v33100L8set_zeroIfPfEEviiT0_iil13rocblas_fill_,"axG",@progbits,_ZN9rocsolver6v33100L8set_zeroIfPfEEviiT0_iil13rocblas_fill_,comdat
.Lfunc_end0:
	.size	_ZN9rocsolver6v33100L8set_zeroIfPfEEviiT0_iil13rocblas_fill_, .Lfunc_end0-_ZN9rocsolver6v33100L8set_zeroIfPfEEviiT0_iil13rocblas_fill_
                                        ; -- End function
	.set _ZN9rocsolver6v33100L8set_zeroIfPfEEviiT0_iil13rocblas_fill_.num_vgpr, 4
	.set _ZN9rocsolver6v33100L8set_zeroIfPfEEviiT0_iil13rocblas_fill_.num_agpr, 0
	.set _ZN9rocsolver6v33100L8set_zeroIfPfEEviiT0_iil13rocblas_fill_.numbered_sgpr, 9
	.set _ZN9rocsolver6v33100L8set_zeroIfPfEEviiT0_iil13rocblas_fill_.num_named_barrier, 0
	.set _ZN9rocsolver6v33100L8set_zeroIfPfEEviiT0_iil13rocblas_fill_.private_seg_size, 0
	.set _ZN9rocsolver6v33100L8set_zeroIfPfEEviiT0_iil13rocblas_fill_.uses_vcc, 1
	.set _ZN9rocsolver6v33100L8set_zeroIfPfEEviiT0_iil13rocblas_fill_.uses_flat_scratch, 0
	.set _ZN9rocsolver6v33100L8set_zeroIfPfEEviiT0_iil13rocblas_fill_.has_dyn_sized_stack, 0
	.set _ZN9rocsolver6v33100L8set_zeroIfPfEEviiT0_iil13rocblas_fill_.has_recursion, 0
	.set _ZN9rocsolver6v33100L8set_zeroIfPfEEviiT0_iil13rocblas_fill_.has_indirect_call, 0
	.section	.AMDGPU.csdata,"",@progbits
; Kernel info:
; codeLenInByte = 296
; TotalNumSgprs: 13
; NumVgprs: 4
; ScratchSize: 0
; MemoryBound: 0
; FloatMode: 240
; IeeeMode: 1
; LDSByteSize: 0 bytes/workgroup (compile time only)
; SGPRBlocks: 1
; VGPRBlocks: 0
; NumSGPRsForWavesPerEU: 13
; NumVGPRsForWavesPerEU: 4
; Occupancy: 10
; WaveLimiterHint : 0
; COMPUTE_PGM_RSRC2:SCRATCH_EN: 0
; COMPUTE_PGM_RSRC2:USER_SGPR: 6
; COMPUTE_PGM_RSRC2:TRAP_HANDLER: 0
; COMPUTE_PGM_RSRC2:TGID_X_EN: 1
; COMPUTE_PGM_RSRC2:TGID_Y_EN: 1
; COMPUTE_PGM_RSRC2:TGID_Z_EN: 1
; COMPUTE_PGM_RSRC2:TIDIG_COMP_CNT: 1
	.section	.text._ZN9rocsolver6v33100L8copy_matIfPfS2_NS0_7no_maskEEEviiT0_iilT1_iilT2_13rocblas_fill_17rocblas_diagonal_,"axG",@progbits,_ZN9rocsolver6v33100L8copy_matIfPfS2_NS0_7no_maskEEEviiT0_iilT1_iilT2_13rocblas_fill_17rocblas_diagonal_,comdat
	.globl	_ZN9rocsolver6v33100L8copy_matIfPfS2_NS0_7no_maskEEEviiT0_iilT1_iilT2_13rocblas_fill_17rocblas_diagonal_ ; -- Begin function _ZN9rocsolver6v33100L8copy_matIfPfS2_NS0_7no_maskEEEviiT0_iilT1_iilT2_13rocblas_fill_17rocblas_diagonal_
	.p2align	8
	.type	_ZN9rocsolver6v33100L8copy_matIfPfS2_NS0_7no_maskEEEviiT0_iilT1_iilT2_13rocblas_fill_17rocblas_diagonal_,@function
_ZN9rocsolver6v33100L8copy_matIfPfS2_NS0_7no_maskEEEviiT0_iilT1_iilT2_13rocblas_fill_17rocblas_diagonal_: ; @_ZN9rocsolver6v33100L8copy_matIfPfS2_NS0_7no_maskEEEviiT0_iilT1_iilT2_13rocblas_fill_17rocblas_diagonal_
; %bb.0:
	s_load_dword s2, s[4:5], 0x54
	s_load_dwordx2 s[0:1], s[4:5], 0x0
	s_waitcnt lgkmcnt(0)
	s_lshr_b32 s3, s2, 16
	s_and_b32 s2, s2, 0xffff
	s_mul_i32 s7, s7, s3
	s_mul_i32 s6, s6, s2
	v_add_u32_e32 v1, s7, v1
	v_add_u32_e32 v0, s6, v0
	v_cmp_gt_u32_e32 vcc, s0, v0
	v_cmp_gt_u32_e64 s[0:1], s1, v1
	s_and_b64 s[0:1], s[0:1], vcc
	s_and_saveexec_b64 s[2:3], s[0:1]
	s_cbranch_execz .LBB1_14
; %bb.1:
	s_load_dwordx2 s[2:3], s[4:5], 0x3c
	s_waitcnt lgkmcnt(0)
	s_cmpk_lt_i32 s2, 0x7a
	s_cbranch_scc1 .LBB1_4
; %bb.2:
	s_cmpk_gt_i32 s2, 0x7a
	s_cbranch_scc0 .LBB1_5
; %bb.3:
	s_cmpk_lg_i32 s2, 0x7b
	s_mov_b64 s[6:7], -1
	s_cselect_b64 s[10:11], -1, 0
	s_cbranch_execz .LBB1_6
	s_branch .LBB1_7
.LBB1_4:
	s_mov_b64 s[10:11], 0
	s_mov_b64 s[6:7], 0
	s_cbranch_execnz .LBB1_8
	s_branch .LBB1_10
.LBB1_5:
	s_mov_b64 s[6:7], 0
	s_mov_b64 s[10:11], 0
.LBB1_6:
	v_cmp_gt_u32_e32 vcc, v0, v1
	v_cmp_le_u32_e64 s[0:1], v0, v1
	s_andn2_b64 s[6:7], s[6:7], exec
	s_and_b64 s[12:13], vcc, exec
	s_andn2_b64 s[10:11], s[10:11], exec
	s_and_b64 s[0:1], s[0:1], exec
	s_or_b64 s[6:7], s[6:7], s[12:13]
	s_or_b64 s[10:11], s[10:11], s[0:1]
.LBB1_7:
	s_branch .LBB1_10
.LBB1_8:
	s_cmpk_eq_i32 s2, 0x79
	s_mov_b64 s[10:11], -1
	s_cbranch_scc0 .LBB1_10
; %bb.9:
	v_cmp_gt_u32_e32 vcc, v1, v0
	v_cmp_le_u32_e64 s[0:1], v1, v0
	s_andn2_b64 s[6:7], s[6:7], exec
	s_and_b64 s[10:11], vcc, exec
	s_or_b64 s[6:7], s[6:7], s[10:11]
	s_orn2_b64 s[10:11], s[0:1], exec
.LBB1_10:
	s_and_saveexec_b64 s[0:1], s[10:11]
; %bb.11:
	s_cmpk_eq_i32 s3, 0x83
	s_cselect_b64 s[2:3], -1, 0
	v_cmp_eq_u32_e32 vcc, v0, v1
	s_and_b64 s[2:3], s[2:3], vcc
	s_andn2_b64 s[6:7], s[6:7], exec
	s_and_b64 s[2:3], s[2:3], exec
	s_or_b64 s[6:7], s[6:7], s[2:3]
; %bb.12:
	s_or_b64 exec, exec, s[0:1]
	s_and_b64 exec, exec, s[6:7]
	s_cbranch_execz .LBB1_14
; %bb.13:
	s_load_dwordx8 s[12:19], s[4:5], 0x8
	s_waitcnt lgkmcnt(0)
	s_mul_i32 s3, s17, s8
	s_mul_hi_u32 s6, s16, s8
	s_mul_i32 s2, s16, s8
	s_add_i32 s3, s6, s3
	s_ashr_i32 s1, s14, 31
	s_lshl_b64 s[2:3], s[2:3], 2
	s_add_u32 s6, s12, s2
	s_addc_u32 s7, s13, s3
	v_mad_u64_u32 v[2:3], s[2:3], v1, s15, v[0:1]
	s_mov_b32 s0, s14
	s_lshl_b64 s[0:1], s[0:1], 2
	v_mov_b32_e32 v3, 0
	s_add_u32 s0, s6, s0
	v_lshlrev_b64 v[4:5], 2, v[2:3]
	s_addc_u32 s1, s7, s1
	v_mov_b32_e32 v2, s1
	v_add_co_u32_e32 v4, vcc, s0, v4
	v_addc_co_u32_e32 v5, vcc, v2, v5, vcc
	global_load_dword v2, v[4:5], off
	s_load_dwordx4 s[0:3], s[4:5], 0x28
	s_waitcnt lgkmcnt(0)
	s_ashr_i32 s5, s0, 31
	s_mov_b32 s4, s0
	s_mul_i32 s0, s3, s8
	s_mul_hi_u32 s3, s2, s8
	s_add_i32 s3, s3, s0
	s_mul_i32 s2, s2, s8
	v_mad_u64_u32 v[0:1], s[0:1], v1, s1, v[0:1]
	s_lshl_b64 s[2:3], s[2:3], 2
	s_add_u32 s6, s18, s2
	s_addc_u32 s7, s19, s3
	s_lshl_b64 s[2:3], s[4:5], 2
	v_mov_b32_e32 v1, v3
	s_add_u32 s0, s6, s2
	v_lshlrev_b64 v[0:1], 2, v[0:1]
	s_addc_u32 s1, s7, s3
	v_mov_b32_e32 v3, s1
	v_add_co_u32_e32 v0, vcc, s0, v0
	v_addc_co_u32_e32 v1, vcc, v3, v1, vcc
	s_waitcnt vmcnt(0)
	global_store_dword v[0:1], v2, off
.LBB1_14:
	s_endpgm
	.section	.rodata,"a",@progbits
	.p2align	6, 0x0
	.amdhsa_kernel _ZN9rocsolver6v33100L8copy_matIfPfS2_NS0_7no_maskEEEviiT0_iilT1_iilT2_13rocblas_fill_17rocblas_diagonal_
		.amdhsa_group_segment_fixed_size 0
		.amdhsa_private_segment_fixed_size 0
		.amdhsa_kernarg_size 328
		.amdhsa_user_sgpr_count 6
		.amdhsa_user_sgpr_private_segment_buffer 1
		.amdhsa_user_sgpr_dispatch_ptr 0
		.amdhsa_user_sgpr_queue_ptr 0
		.amdhsa_user_sgpr_kernarg_segment_ptr 1
		.amdhsa_user_sgpr_dispatch_id 0
		.amdhsa_user_sgpr_flat_scratch_init 0
		.amdhsa_user_sgpr_private_segment_size 0
		.amdhsa_uses_dynamic_stack 0
		.amdhsa_system_sgpr_private_segment_wavefront_offset 0
		.amdhsa_system_sgpr_workgroup_id_x 1
		.amdhsa_system_sgpr_workgroup_id_y 1
		.amdhsa_system_sgpr_workgroup_id_z 1
		.amdhsa_system_sgpr_workgroup_info 0
		.amdhsa_system_vgpr_workitem_id 1
		.amdhsa_next_free_vgpr 6
		.amdhsa_next_free_sgpr 20
		.amdhsa_reserve_vcc 1
		.amdhsa_reserve_flat_scratch 0
		.amdhsa_float_round_mode_32 0
		.amdhsa_float_round_mode_16_64 0
		.amdhsa_float_denorm_mode_32 3
		.amdhsa_float_denorm_mode_16_64 3
		.amdhsa_dx10_clamp 1
		.amdhsa_ieee_mode 1
		.amdhsa_fp16_overflow 0
		.amdhsa_exception_fp_ieee_invalid_op 0
		.amdhsa_exception_fp_denorm_src 0
		.amdhsa_exception_fp_ieee_div_zero 0
		.amdhsa_exception_fp_ieee_overflow 0
		.amdhsa_exception_fp_ieee_underflow 0
		.amdhsa_exception_fp_ieee_inexact 0
		.amdhsa_exception_int_div_zero 0
	.end_amdhsa_kernel
	.section	.text._ZN9rocsolver6v33100L8copy_matIfPfS2_NS0_7no_maskEEEviiT0_iilT1_iilT2_13rocblas_fill_17rocblas_diagonal_,"axG",@progbits,_ZN9rocsolver6v33100L8copy_matIfPfS2_NS0_7no_maskEEEviiT0_iilT1_iilT2_13rocblas_fill_17rocblas_diagonal_,comdat
.Lfunc_end1:
	.size	_ZN9rocsolver6v33100L8copy_matIfPfS2_NS0_7no_maskEEEviiT0_iilT1_iilT2_13rocblas_fill_17rocblas_diagonal_, .Lfunc_end1-_ZN9rocsolver6v33100L8copy_matIfPfS2_NS0_7no_maskEEEviiT0_iilT1_iilT2_13rocblas_fill_17rocblas_diagonal_
                                        ; -- End function
	.set _ZN9rocsolver6v33100L8copy_matIfPfS2_NS0_7no_maskEEEviiT0_iilT1_iilT2_13rocblas_fill_17rocblas_diagonal_.num_vgpr, 6
	.set _ZN9rocsolver6v33100L8copy_matIfPfS2_NS0_7no_maskEEEviiT0_iilT1_iilT2_13rocblas_fill_17rocblas_diagonal_.num_agpr, 0
	.set _ZN9rocsolver6v33100L8copy_matIfPfS2_NS0_7no_maskEEEviiT0_iilT1_iilT2_13rocblas_fill_17rocblas_diagonal_.numbered_sgpr, 20
	.set _ZN9rocsolver6v33100L8copy_matIfPfS2_NS0_7no_maskEEEviiT0_iilT1_iilT2_13rocblas_fill_17rocblas_diagonal_.num_named_barrier, 0
	.set _ZN9rocsolver6v33100L8copy_matIfPfS2_NS0_7no_maskEEEviiT0_iilT1_iilT2_13rocblas_fill_17rocblas_diagonal_.private_seg_size, 0
	.set _ZN9rocsolver6v33100L8copy_matIfPfS2_NS0_7no_maskEEEviiT0_iilT1_iilT2_13rocblas_fill_17rocblas_diagonal_.uses_vcc, 1
	.set _ZN9rocsolver6v33100L8copy_matIfPfS2_NS0_7no_maskEEEviiT0_iilT1_iilT2_13rocblas_fill_17rocblas_diagonal_.uses_flat_scratch, 0
	.set _ZN9rocsolver6v33100L8copy_matIfPfS2_NS0_7no_maskEEEviiT0_iilT1_iilT2_13rocblas_fill_17rocblas_diagonal_.has_dyn_sized_stack, 0
	.set _ZN9rocsolver6v33100L8copy_matIfPfS2_NS0_7no_maskEEEviiT0_iilT1_iilT2_13rocblas_fill_17rocblas_diagonal_.has_recursion, 0
	.set _ZN9rocsolver6v33100L8copy_matIfPfS2_NS0_7no_maskEEEviiT0_iilT1_iilT2_13rocblas_fill_17rocblas_diagonal_.has_indirect_call, 0
	.section	.AMDGPU.csdata,"",@progbits
; Kernel info:
; codeLenInByte = 476
; TotalNumSgprs: 24
; NumVgprs: 6
; ScratchSize: 0
; MemoryBound: 0
; FloatMode: 240
; IeeeMode: 1
; LDSByteSize: 0 bytes/workgroup (compile time only)
; SGPRBlocks: 2
; VGPRBlocks: 1
; NumSGPRsForWavesPerEU: 24
; NumVGPRsForWavesPerEU: 6
; Occupancy: 10
; WaveLimiterHint : 0
; COMPUTE_PGM_RSRC2:SCRATCH_EN: 0
; COMPUTE_PGM_RSRC2:USER_SGPR: 6
; COMPUTE_PGM_RSRC2:TRAP_HANDLER: 0
; COMPUTE_PGM_RSRC2:TGID_X_EN: 1
; COMPUTE_PGM_RSRC2:TGID_Y_EN: 1
; COMPUTE_PGM_RSRC2:TGID_Z_EN: 1
; COMPUTE_PGM_RSRC2:TIDIG_COMP_CNT: 1
	.section	.text._ZN9rocsolver6v33100L8set_zeroIdPdEEviiT0_iil13rocblas_fill_,"axG",@progbits,_ZN9rocsolver6v33100L8set_zeroIdPdEEviiT0_iil13rocblas_fill_,comdat
	.globl	_ZN9rocsolver6v33100L8set_zeroIdPdEEviiT0_iil13rocblas_fill_ ; -- Begin function _ZN9rocsolver6v33100L8set_zeroIdPdEEviiT0_iil13rocblas_fill_
	.p2align	8
	.type	_ZN9rocsolver6v33100L8set_zeroIdPdEEviiT0_iil13rocblas_fill_,@function
_ZN9rocsolver6v33100L8set_zeroIdPdEEviiT0_iil13rocblas_fill_: ; @_ZN9rocsolver6v33100L8set_zeroIdPdEEviiT0_iil13rocblas_fill_
; %bb.0:
	s_load_dword s2, s[4:5], 0x34
	s_load_dwordx2 s[0:1], s[4:5], 0x0
	s_waitcnt lgkmcnt(0)
	s_lshr_b32 s3, s2, 16
	s_and_b32 s2, s2, 0xffff
	s_mul_i32 s6, s6, s2
	s_mul_i32 s7, s7, s3
	v_add_u32_e32 v0, s6, v0
	v_add_u32_e32 v1, s7, v1
	v_cmp_gt_u32_e32 vcc, s0, v0
	v_cmp_gt_u32_e64 s[0:1], s1, v1
	s_and_b64 s[0:1], vcc, s[0:1]
	s_and_saveexec_b64 s[2:3], s[0:1]
	s_cbranch_execz .LBB2_12
; %bb.1:
	s_load_dword s6, s[4:5], 0x20
	s_waitcnt lgkmcnt(0)
	s_cmpk_lt_i32 s6, 0x7a
	s_cbranch_scc1 .LBB2_4
; %bb.2:
	s_cmpk_gt_i32 s6, 0x7a
	s_cbranch_scc0 .LBB2_5
; %bb.3:
	s_cmpk_eq_i32 s6, 0x7b
	s_cselect_b64 s[0:1], -1, 0
	s_cbranch_execz .LBB2_6
	s_branch .LBB2_7
.LBB2_4:
	s_mov_b64 s[0:1], 0
	s_cbranch_execnz .LBB2_8
	s_branch .LBB2_10
.LBB2_5:
	s_mov_b64 s[0:1], 0
.LBB2_6:
	v_cmp_gt_u32_e32 vcc, v1, v0
	s_andn2_b64 s[0:1], s[0:1], exec
	s_and_b64 s[2:3], vcc, exec
	s_or_b64 s[0:1], s[0:1], s[2:3]
.LBB2_7:
	s_branch .LBB2_10
.LBB2_8:
	s_cmpk_eq_i32 s6, 0x79
	s_cbranch_scc0 .LBB2_10
; %bb.9:
	v_cmp_gt_u32_e32 vcc, v0, v1
	s_andn2_b64 s[0:1], s[0:1], exec
	s_and_b64 s[2:3], vcc, exec
	s_or_b64 s[0:1], s[0:1], s[2:3]
.LBB2_10:
	s_and_b64 exec, exec, s[0:1]
	s_cbranch_execz .LBB2_12
; %bb.11:
	s_load_dwordx4 s[0:3], s[4:5], 0x8
	s_load_dwordx2 s[6:7], s[4:5], 0x18
	s_waitcnt lgkmcnt(0)
	s_ashr_i32 s5, s2, 31
	s_mov_b32 s4, s2
	s_mul_i32 s2, s7, s8
	s_mul_hi_u32 s7, s6, s8
	s_add_i32 s7, s7, s2
	s_mul_i32 s6, s6, s8
	v_mad_u64_u32 v[0:1], s[2:3], v1, s3, v[0:1]
	s_lshl_b64 s[6:7], s[6:7], 3
	s_add_u32 s6, s0, s6
	s_addc_u32 s7, s1, s7
	s_lshl_b64 s[0:1], s[4:5], 3
	v_mov_b32_e32 v1, 0
	s_add_u32 s0, s6, s0
	v_lshlrev_b64 v[2:3], 3, v[0:1]
	s_addc_u32 s1, s7, s1
	v_mov_b32_e32 v0, s1
	v_add_co_u32_e32 v2, vcc, s0, v2
	v_addc_co_u32_e32 v3, vcc, v0, v3, vcc
	v_mov_b32_e32 v0, v1
	global_store_dwordx2 v[2:3], v[0:1], off
.LBB2_12:
	s_endpgm
	.section	.rodata,"a",@progbits
	.p2align	6, 0x0
	.amdhsa_kernel _ZN9rocsolver6v33100L8set_zeroIdPdEEviiT0_iil13rocblas_fill_
		.amdhsa_group_segment_fixed_size 0
		.amdhsa_private_segment_fixed_size 0
		.amdhsa_kernarg_size 296
		.amdhsa_user_sgpr_count 6
		.amdhsa_user_sgpr_private_segment_buffer 1
		.amdhsa_user_sgpr_dispatch_ptr 0
		.amdhsa_user_sgpr_queue_ptr 0
		.amdhsa_user_sgpr_kernarg_segment_ptr 1
		.amdhsa_user_sgpr_dispatch_id 0
		.amdhsa_user_sgpr_flat_scratch_init 0
		.amdhsa_user_sgpr_private_segment_size 0
		.amdhsa_uses_dynamic_stack 0
		.amdhsa_system_sgpr_private_segment_wavefront_offset 0
		.amdhsa_system_sgpr_workgroup_id_x 1
		.amdhsa_system_sgpr_workgroup_id_y 1
		.amdhsa_system_sgpr_workgroup_id_z 1
		.amdhsa_system_sgpr_workgroup_info 0
		.amdhsa_system_vgpr_workitem_id 1
		.amdhsa_next_free_vgpr 4
		.amdhsa_next_free_sgpr 9
		.amdhsa_reserve_vcc 1
		.amdhsa_reserve_flat_scratch 0
		.amdhsa_float_round_mode_32 0
		.amdhsa_float_round_mode_16_64 0
		.amdhsa_float_denorm_mode_32 3
		.amdhsa_float_denorm_mode_16_64 3
		.amdhsa_dx10_clamp 1
		.amdhsa_ieee_mode 1
		.amdhsa_fp16_overflow 0
		.amdhsa_exception_fp_ieee_invalid_op 0
		.amdhsa_exception_fp_denorm_src 0
		.amdhsa_exception_fp_ieee_div_zero 0
		.amdhsa_exception_fp_ieee_overflow 0
		.amdhsa_exception_fp_ieee_underflow 0
		.amdhsa_exception_fp_ieee_inexact 0
		.amdhsa_exception_int_div_zero 0
	.end_amdhsa_kernel
	.section	.text._ZN9rocsolver6v33100L8set_zeroIdPdEEviiT0_iil13rocblas_fill_,"axG",@progbits,_ZN9rocsolver6v33100L8set_zeroIdPdEEviiT0_iil13rocblas_fill_,comdat
.Lfunc_end2:
	.size	_ZN9rocsolver6v33100L8set_zeroIdPdEEviiT0_iil13rocblas_fill_, .Lfunc_end2-_ZN9rocsolver6v33100L8set_zeroIdPdEEviiT0_iil13rocblas_fill_
                                        ; -- End function
	.set _ZN9rocsolver6v33100L8set_zeroIdPdEEviiT0_iil13rocblas_fill_.num_vgpr, 4
	.set _ZN9rocsolver6v33100L8set_zeroIdPdEEviiT0_iil13rocblas_fill_.num_agpr, 0
	.set _ZN9rocsolver6v33100L8set_zeroIdPdEEviiT0_iil13rocblas_fill_.numbered_sgpr, 9
	.set _ZN9rocsolver6v33100L8set_zeroIdPdEEviiT0_iil13rocblas_fill_.num_named_barrier, 0
	.set _ZN9rocsolver6v33100L8set_zeroIdPdEEviiT0_iil13rocblas_fill_.private_seg_size, 0
	.set _ZN9rocsolver6v33100L8set_zeroIdPdEEviiT0_iil13rocblas_fill_.uses_vcc, 1
	.set _ZN9rocsolver6v33100L8set_zeroIdPdEEviiT0_iil13rocblas_fill_.uses_flat_scratch, 0
	.set _ZN9rocsolver6v33100L8set_zeroIdPdEEviiT0_iil13rocblas_fill_.has_dyn_sized_stack, 0
	.set _ZN9rocsolver6v33100L8set_zeroIdPdEEviiT0_iil13rocblas_fill_.has_recursion, 0
	.set _ZN9rocsolver6v33100L8set_zeroIdPdEEviiT0_iil13rocblas_fill_.has_indirect_call, 0
	.section	.AMDGPU.csdata,"",@progbits
; Kernel info:
; codeLenInByte = 300
; TotalNumSgprs: 13
; NumVgprs: 4
; ScratchSize: 0
; MemoryBound: 0
; FloatMode: 240
; IeeeMode: 1
; LDSByteSize: 0 bytes/workgroup (compile time only)
; SGPRBlocks: 1
; VGPRBlocks: 0
; NumSGPRsForWavesPerEU: 13
; NumVGPRsForWavesPerEU: 4
; Occupancy: 10
; WaveLimiterHint : 0
; COMPUTE_PGM_RSRC2:SCRATCH_EN: 0
; COMPUTE_PGM_RSRC2:USER_SGPR: 6
; COMPUTE_PGM_RSRC2:TRAP_HANDLER: 0
; COMPUTE_PGM_RSRC2:TGID_X_EN: 1
; COMPUTE_PGM_RSRC2:TGID_Y_EN: 1
; COMPUTE_PGM_RSRC2:TGID_Z_EN: 1
; COMPUTE_PGM_RSRC2:TIDIG_COMP_CNT: 1
	.section	.text._ZN9rocsolver6v33100L8copy_matIdPdS2_NS0_7no_maskEEEviiT0_iilT1_iilT2_13rocblas_fill_17rocblas_diagonal_,"axG",@progbits,_ZN9rocsolver6v33100L8copy_matIdPdS2_NS0_7no_maskEEEviiT0_iilT1_iilT2_13rocblas_fill_17rocblas_diagonal_,comdat
	.globl	_ZN9rocsolver6v33100L8copy_matIdPdS2_NS0_7no_maskEEEviiT0_iilT1_iilT2_13rocblas_fill_17rocblas_diagonal_ ; -- Begin function _ZN9rocsolver6v33100L8copy_matIdPdS2_NS0_7no_maskEEEviiT0_iilT1_iilT2_13rocblas_fill_17rocblas_diagonal_
	.p2align	8
	.type	_ZN9rocsolver6v33100L8copy_matIdPdS2_NS0_7no_maskEEEviiT0_iilT1_iilT2_13rocblas_fill_17rocblas_diagonal_,@function
_ZN9rocsolver6v33100L8copy_matIdPdS2_NS0_7no_maskEEEviiT0_iilT1_iilT2_13rocblas_fill_17rocblas_diagonal_: ; @_ZN9rocsolver6v33100L8copy_matIdPdS2_NS0_7no_maskEEEviiT0_iilT1_iilT2_13rocblas_fill_17rocblas_diagonal_
; %bb.0:
	s_load_dword s2, s[4:5], 0x54
	s_load_dwordx2 s[0:1], s[4:5], 0x0
	s_waitcnt lgkmcnt(0)
	s_lshr_b32 s3, s2, 16
	s_and_b32 s2, s2, 0xffff
	s_mul_i32 s7, s7, s3
	s_mul_i32 s6, s6, s2
	v_add_u32_e32 v1, s7, v1
	v_add_u32_e32 v0, s6, v0
	v_cmp_gt_u32_e32 vcc, s0, v0
	v_cmp_gt_u32_e64 s[0:1], s1, v1
	s_and_b64 s[0:1], s[0:1], vcc
	s_and_saveexec_b64 s[2:3], s[0:1]
	s_cbranch_execz .LBB3_14
; %bb.1:
	s_load_dwordx2 s[2:3], s[4:5], 0x3c
	s_waitcnt lgkmcnt(0)
	s_cmpk_lt_i32 s2, 0x7a
	s_cbranch_scc1 .LBB3_4
; %bb.2:
	s_cmpk_gt_i32 s2, 0x7a
	s_cbranch_scc0 .LBB3_5
; %bb.3:
	s_cmpk_lg_i32 s2, 0x7b
	s_mov_b64 s[6:7], -1
	s_cselect_b64 s[10:11], -1, 0
	s_cbranch_execz .LBB3_6
	s_branch .LBB3_7
.LBB3_4:
	s_mov_b64 s[10:11], 0
	s_mov_b64 s[6:7], 0
	s_cbranch_execnz .LBB3_8
	s_branch .LBB3_10
.LBB3_5:
	s_mov_b64 s[6:7], 0
	s_mov_b64 s[10:11], 0
.LBB3_6:
	v_cmp_gt_u32_e32 vcc, v0, v1
	v_cmp_le_u32_e64 s[0:1], v0, v1
	s_andn2_b64 s[6:7], s[6:7], exec
	s_and_b64 s[12:13], vcc, exec
	s_andn2_b64 s[10:11], s[10:11], exec
	s_and_b64 s[0:1], s[0:1], exec
	s_or_b64 s[6:7], s[6:7], s[12:13]
	s_or_b64 s[10:11], s[10:11], s[0:1]
.LBB3_7:
	s_branch .LBB3_10
.LBB3_8:
	s_cmpk_eq_i32 s2, 0x79
	s_mov_b64 s[10:11], -1
	s_cbranch_scc0 .LBB3_10
; %bb.9:
	v_cmp_gt_u32_e32 vcc, v1, v0
	v_cmp_le_u32_e64 s[0:1], v1, v0
	s_andn2_b64 s[6:7], s[6:7], exec
	s_and_b64 s[10:11], vcc, exec
	s_or_b64 s[6:7], s[6:7], s[10:11]
	s_orn2_b64 s[10:11], s[0:1], exec
.LBB3_10:
	s_and_saveexec_b64 s[0:1], s[10:11]
; %bb.11:
	s_cmpk_eq_i32 s3, 0x83
	s_cselect_b64 s[2:3], -1, 0
	v_cmp_eq_u32_e32 vcc, v0, v1
	s_and_b64 s[2:3], s[2:3], vcc
	s_andn2_b64 s[6:7], s[6:7], exec
	s_and_b64 s[2:3], s[2:3], exec
	s_or_b64 s[6:7], s[6:7], s[2:3]
; %bb.12:
	s_or_b64 exec, exec, s[0:1]
	s_and_b64 exec, exec, s[6:7]
	s_cbranch_execz .LBB3_14
; %bb.13:
	s_load_dwordx8 s[12:19], s[4:5], 0x8
	s_waitcnt lgkmcnt(0)
	s_mul_i32 s3, s17, s8
	s_mul_hi_u32 s6, s16, s8
	s_mul_i32 s2, s16, s8
	s_add_i32 s3, s6, s3
	s_ashr_i32 s1, s14, 31
	s_lshl_b64 s[2:3], s[2:3], 3
	s_add_u32 s6, s12, s2
	s_addc_u32 s7, s13, s3
	v_mad_u64_u32 v[2:3], s[2:3], v1, s15, v[0:1]
	s_mov_b32 s0, s14
	s_lshl_b64 s[0:1], s[0:1], 3
	v_mov_b32_e32 v3, 0
	s_add_u32 s0, s6, s0
	v_lshlrev_b64 v[4:5], 3, v[2:3]
	s_addc_u32 s1, s7, s1
	v_mov_b32_e32 v2, s1
	v_add_co_u32_e32 v4, vcc, s0, v4
	v_addc_co_u32_e32 v5, vcc, v2, v5, vcc
	global_load_dwordx2 v[4:5], v[4:5], off
	s_load_dwordx4 s[0:3], s[4:5], 0x28
	s_waitcnt lgkmcnt(0)
	s_ashr_i32 s5, s0, 31
	s_mov_b32 s4, s0
	s_mul_i32 s0, s3, s8
	s_mul_hi_u32 s3, s2, s8
	s_add_i32 s3, s3, s0
	s_mul_i32 s2, s2, s8
	v_mad_u64_u32 v[0:1], s[0:1], v1, s1, v[0:1]
	s_lshl_b64 s[2:3], s[2:3], 3
	s_add_u32 s6, s18, s2
	s_addc_u32 s7, s19, s3
	s_lshl_b64 s[2:3], s[4:5], 3
	v_mov_b32_e32 v1, v3
	s_add_u32 s0, s6, s2
	v_lshlrev_b64 v[0:1], 3, v[0:1]
	s_addc_u32 s1, s7, s3
	v_mov_b32_e32 v2, s1
	v_add_co_u32_e32 v0, vcc, s0, v0
	v_addc_co_u32_e32 v1, vcc, v2, v1, vcc
	s_waitcnt vmcnt(0)
	global_store_dwordx2 v[0:1], v[4:5], off
.LBB3_14:
	s_endpgm
	.section	.rodata,"a",@progbits
	.p2align	6, 0x0
	.amdhsa_kernel _ZN9rocsolver6v33100L8copy_matIdPdS2_NS0_7no_maskEEEviiT0_iilT1_iilT2_13rocblas_fill_17rocblas_diagonal_
		.amdhsa_group_segment_fixed_size 0
		.amdhsa_private_segment_fixed_size 0
		.amdhsa_kernarg_size 328
		.amdhsa_user_sgpr_count 6
		.amdhsa_user_sgpr_private_segment_buffer 1
		.amdhsa_user_sgpr_dispatch_ptr 0
		.amdhsa_user_sgpr_queue_ptr 0
		.amdhsa_user_sgpr_kernarg_segment_ptr 1
		.amdhsa_user_sgpr_dispatch_id 0
		.amdhsa_user_sgpr_flat_scratch_init 0
		.amdhsa_user_sgpr_private_segment_size 0
		.amdhsa_uses_dynamic_stack 0
		.amdhsa_system_sgpr_private_segment_wavefront_offset 0
		.amdhsa_system_sgpr_workgroup_id_x 1
		.amdhsa_system_sgpr_workgroup_id_y 1
		.amdhsa_system_sgpr_workgroup_id_z 1
		.amdhsa_system_sgpr_workgroup_info 0
		.amdhsa_system_vgpr_workitem_id 1
		.amdhsa_next_free_vgpr 6
		.amdhsa_next_free_sgpr 20
		.amdhsa_reserve_vcc 1
		.amdhsa_reserve_flat_scratch 0
		.amdhsa_float_round_mode_32 0
		.amdhsa_float_round_mode_16_64 0
		.amdhsa_float_denorm_mode_32 3
		.amdhsa_float_denorm_mode_16_64 3
		.amdhsa_dx10_clamp 1
		.amdhsa_ieee_mode 1
		.amdhsa_fp16_overflow 0
		.amdhsa_exception_fp_ieee_invalid_op 0
		.amdhsa_exception_fp_denorm_src 0
		.amdhsa_exception_fp_ieee_div_zero 0
		.amdhsa_exception_fp_ieee_overflow 0
		.amdhsa_exception_fp_ieee_underflow 0
		.amdhsa_exception_fp_ieee_inexact 0
		.amdhsa_exception_int_div_zero 0
	.end_amdhsa_kernel
	.section	.text._ZN9rocsolver6v33100L8copy_matIdPdS2_NS0_7no_maskEEEviiT0_iilT1_iilT2_13rocblas_fill_17rocblas_diagonal_,"axG",@progbits,_ZN9rocsolver6v33100L8copy_matIdPdS2_NS0_7no_maskEEEviiT0_iilT1_iilT2_13rocblas_fill_17rocblas_diagonal_,comdat
.Lfunc_end3:
	.size	_ZN9rocsolver6v33100L8copy_matIdPdS2_NS0_7no_maskEEEviiT0_iilT1_iilT2_13rocblas_fill_17rocblas_diagonal_, .Lfunc_end3-_ZN9rocsolver6v33100L8copy_matIdPdS2_NS0_7no_maskEEEviiT0_iilT1_iilT2_13rocblas_fill_17rocblas_diagonal_
                                        ; -- End function
	.set _ZN9rocsolver6v33100L8copy_matIdPdS2_NS0_7no_maskEEEviiT0_iilT1_iilT2_13rocblas_fill_17rocblas_diagonal_.num_vgpr, 6
	.set _ZN9rocsolver6v33100L8copy_matIdPdS2_NS0_7no_maskEEEviiT0_iilT1_iilT2_13rocblas_fill_17rocblas_diagonal_.num_agpr, 0
	.set _ZN9rocsolver6v33100L8copy_matIdPdS2_NS0_7no_maskEEEviiT0_iilT1_iilT2_13rocblas_fill_17rocblas_diagonal_.numbered_sgpr, 20
	.set _ZN9rocsolver6v33100L8copy_matIdPdS2_NS0_7no_maskEEEviiT0_iilT1_iilT2_13rocblas_fill_17rocblas_diagonal_.num_named_barrier, 0
	.set _ZN9rocsolver6v33100L8copy_matIdPdS2_NS0_7no_maskEEEviiT0_iilT1_iilT2_13rocblas_fill_17rocblas_diagonal_.private_seg_size, 0
	.set _ZN9rocsolver6v33100L8copy_matIdPdS2_NS0_7no_maskEEEviiT0_iilT1_iilT2_13rocblas_fill_17rocblas_diagonal_.uses_vcc, 1
	.set _ZN9rocsolver6v33100L8copy_matIdPdS2_NS0_7no_maskEEEviiT0_iilT1_iilT2_13rocblas_fill_17rocblas_diagonal_.uses_flat_scratch, 0
	.set _ZN9rocsolver6v33100L8copy_matIdPdS2_NS0_7no_maskEEEviiT0_iilT1_iilT2_13rocblas_fill_17rocblas_diagonal_.has_dyn_sized_stack, 0
	.set _ZN9rocsolver6v33100L8copy_matIdPdS2_NS0_7no_maskEEEviiT0_iilT1_iilT2_13rocblas_fill_17rocblas_diagonal_.has_recursion, 0
	.set _ZN9rocsolver6v33100L8copy_matIdPdS2_NS0_7no_maskEEEviiT0_iilT1_iilT2_13rocblas_fill_17rocblas_diagonal_.has_indirect_call, 0
	.section	.AMDGPU.csdata,"",@progbits
; Kernel info:
; codeLenInByte = 476
; TotalNumSgprs: 24
; NumVgprs: 6
; ScratchSize: 0
; MemoryBound: 0
; FloatMode: 240
; IeeeMode: 1
; LDSByteSize: 0 bytes/workgroup (compile time only)
; SGPRBlocks: 2
; VGPRBlocks: 1
; NumSGPRsForWavesPerEU: 24
; NumVGPRsForWavesPerEU: 6
; Occupancy: 10
; WaveLimiterHint : 0
; COMPUTE_PGM_RSRC2:SCRATCH_EN: 0
; COMPUTE_PGM_RSRC2:USER_SGPR: 6
; COMPUTE_PGM_RSRC2:TRAP_HANDLER: 0
; COMPUTE_PGM_RSRC2:TGID_X_EN: 1
; COMPUTE_PGM_RSRC2:TGID_Y_EN: 1
; COMPUTE_PGM_RSRC2:TGID_Z_EN: 1
; COMPUTE_PGM_RSRC2:TIDIG_COMP_CNT: 1
	.section	.text._ZN9rocsolver6v33100L8set_zeroI19rocblas_complex_numIfEPS3_EEviiT0_iil13rocblas_fill_,"axG",@progbits,_ZN9rocsolver6v33100L8set_zeroI19rocblas_complex_numIfEPS3_EEviiT0_iil13rocblas_fill_,comdat
	.globl	_ZN9rocsolver6v33100L8set_zeroI19rocblas_complex_numIfEPS3_EEviiT0_iil13rocblas_fill_ ; -- Begin function _ZN9rocsolver6v33100L8set_zeroI19rocblas_complex_numIfEPS3_EEviiT0_iil13rocblas_fill_
	.p2align	8
	.type	_ZN9rocsolver6v33100L8set_zeroI19rocblas_complex_numIfEPS3_EEviiT0_iil13rocblas_fill_,@function
_ZN9rocsolver6v33100L8set_zeroI19rocblas_complex_numIfEPS3_EEviiT0_iil13rocblas_fill_: ; @_ZN9rocsolver6v33100L8set_zeroI19rocblas_complex_numIfEPS3_EEviiT0_iil13rocblas_fill_
; %bb.0:
	s_load_dword s2, s[4:5], 0x34
	s_load_dwordx2 s[0:1], s[4:5], 0x0
	s_waitcnt lgkmcnt(0)
	s_lshr_b32 s3, s2, 16
	s_and_b32 s2, s2, 0xffff
	s_mul_i32 s6, s6, s2
	s_mul_i32 s7, s7, s3
	v_add_u32_e32 v0, s6, v0
	v_add_u32_e32 v1, s7, v1
	v_cmp_gt_u32_e32 vcc, s0, v0
	v_cmp_gt_u32_e64 s[0:1], s1, v1
	s_and_b64 s[0:1], vcc, s[0:1]
	s_and_saveexec_b64 s[2:3], s[0:1]
	s_cbranch_execz .LBB4_12
; %bb.1:
	s_load_dword s6, s[4:5], 0x20
	s_waitcnt lgkmcnt(0)
	s_cmpk_lt_i32 s6, 0x7a
	s_cbranch_scc1 .LBB4_4
; %bb.2:
	s_cmpk_gt_i32 s6, 0x7a
	s_cbranch_scc0 .LBB4_5
; %bb.3:
	s_cmpk_eq_i32 s6, 0x7b
	s_cselect_b64 s[0:1], -1, 0
	s_cbranch_execz .LBB4_6
	s_branch .LBB4_7
.LBB4_4:
	s_mov_b64 s[0:1], 0
	s_cbranch_execnz .LBB4_8
	s_branch .LBB4_10
.LBB4_5:
	s_mov_b64 s[0:1], 0
.LBB4_6:
	v_cmp_gt_u32_e32 vcc, v1, v0
	s_andn2_b64 s[0:1], s[0:1], exec
	s_and_b64 s[2:3], vcc, exec
	s_or_b64 s[0:1], s[0:1], s[2:3]
.LBB4_7:
	s_branch .LBB4_10
.LBB4_8:
	s_cmpk_eq_i32 s6, 0x79
	s_cbranch_scc0 .LBB4_10
; %bb.9:
	v_cmp_gt_u32_e32 vcc, v0, v1
	s_andn2_b64 s[0:1], s[0:1], exec
	s_and_b64 s[2:3], vcc, exec
	s_or_b64 s[0:1], s[0:1], s[2:3]
.LBB4_10:
	s_and_b64 exec, exec, s[0:1]
	s_cbranch_execz .LBB4_12
; %bb.11:
	s_load_dwordx4 s[0:3], s[4:5], 0x8
	s_load_dwordx2 s[6:7], s[4:5], 0x18
	s_waitcnt lgkmcnt(0)
	s_ashr_i32 s5, s2, 31
	s_mov_b32 s4, s2
	s_mul_i32 s2, s7, s8
	s_mul_hi_u32 s7, s6, s8
	s_add_i32 s7, s7, s2
	s_mul_i32 s6, s6, s8
	v_mad_u64_u32 v[0:1], s[2:3], v1, s3, v[0:1]
	s_lshl_b64 s[6:7], s[6:7], 3
	s_add_u32 s6, s0, s6
	s_addc_u32 s7, s1, s7
	s_lshl_b64 s[0:1], s[4:5], 3
	v_mov_b32_e32 v1, 0
	s_add_u32 s0, s6, s0
	v_lshlrev_b64 v[2:3], 3, v[0:1]
	s_addc_u32 s1, s7, s1
	v_mov_b32_e32 v0, s1
	v_add_co_u32_e32 v2, vcc, s0, v2
	v_addc_co_u32_e32 v3, vcc, v0, v3, vcc
	v_mov_b32_e32 v0, v1
	global_store_dwordx2 v[2:3], v[0:1], off
.LBB4_12:
	s_endpgm
	.section	.rodata,"a",@progbits
	.p2align	6, 0x0
	.amdhsa_kernel _ZN9rocsolver6v33100L8set_zeroI19rocblas_complex_numIfEPS3_EEviiT0_iil13rocblas_fill_
		.amdhsa_group_segment_fixed_size 0
		.amdhsa_private_segment_fixed_size 0
		.amdhsa_kernarg_size 296
		.amdhsa_user_sgpr_count 6
		.amdhsa_user_sgpr_private_segment_buffer 1
		.amdhsa_user_sgpr_dispatch_ptr 0
		.amdhsa_user_sgpr_queue_ptr 0
		.amdhsa_user_sgpr_kernarg_segment_ptr 1
		.amdhsa_user_sgpr_dispatch_id 0
		.amdhsa_user_sgpr_flat_scratch_init 0
		.amdhsa_user_sgpr_private_segment_size 0
		.amdhsa_uses_dynamic_stack 0
		.amdhsa_system_sgpr_private_segment_wavefront_offset 0
		.amdhsa_system_sgpr_workgroup_id_x 1
		.amdhsa_system_sgpr_workgroup_id_y 1
		.amdhsa_system_sgpr_workgroup_id_z 1
		.amdhsa_system_sgpr_workgroup_info 0
		.amdhsa_system_vgpr_workitem_id 1
		.amdhsa_next_free_vgpr 4
		.amdhsa_next_free_sgpr 9
		.amdhsa_reserve_vcc 1
		.amdhsa_reserve_flat_scratch 0
		.amdhsa_float_round_mode_32 0
		.amdhsa_float_round_mode_16_64 0
		.amdhsa_float_denorm_mode_32 3
		.amdhsa_float_denorm_mode_16_64 3
		.amdhsa_dx10_clamp 1
		.amdhsa_ieee_mode 1
		.amdhsa_fp16_overflow 0
		.amdhsa_exception_fp_ieee_invalid_op 0
		.amdhsa_exception_fp_denorm_src 0
		.amdhsa_exception_fp_ieee_div_zero 0
		.amdhsa_exception_fp_ieee_overflow 0
		.amdhsa_exception_fp_ieee_underflow 0
		.amdhsa_exception_fp_ieee_inexact 0
		.amdhsa_exception_int_div_zero 0
	.end_amdhsa_kernel
	.section	.text._ZN9rocsolver6v33100L8set_zeroI19rocblas_complex_numIfEPS3_EEviiT0_iil13rocblas_fill_,"axG",@progbits,_ZN9rocsolver6v33100L8set_zeroI19rocblas_complex_numIfEPS3_EEviiT0_iil13rocblas_fill_,comdat
.Lfunc_end4:
	.size	_ZN9rocsolver6v33100L8set_zeroI19rocblas_complex_numIfEPS3_EEviiT0_iil13rocblas_fill_, .Lfunc_end4-_ZN9rocsolver6v33100L8set_zeroI19rocblas_complex_numIfEPS3_EEviiT0_iil13rocblas_fill_
                                        ; -- End function
	.set _ZN9rocsolver6v33100L8set_zeroI19rocblas_complex_numIfEPS3_EEviiT0_iil13rocblas_fill_.num_vgpr, 4
	.set _ZN9rocsolver6v33100L8set_zeroI19rocblas_complex_numIfEPS3_EEviiT0_iil13rocblas_fill_.num_agpr, 0
	.set _ZN9rocsolver6v33100L8set_zeroI19rocblas_complex_numIfEPS3_EEviiT0_iil13rocblas_fill_.numbered_sgpr, 9
	.set _ZN9rocsolver6v33100L8set_zeroI19rocblas_complex_numIfEPS3_EEviiT0_iil13rocblas_fill_.num_named_barrier, 0
	.set _ZN9rocsolver6v33100L8set_zeroI19rocblas_complex_numIfEPS3_EEviiT0_iil13rocblas_fill_.private_seg_size, 0
	.set _ZN9rocsolver6v33100L8set_zeroI19rocblas_complex_numIfEPS3_EEviiT0_iil13rocblas_fill_.uses_vcc, 1
	.set _ZN9rocsolver6v33100L8set_zeroI19rocblas_complex_numIfEPS3_EEviiT0_iil13rocblas_fill_.uses_flat_scratch, 0
	.set _ZN9rocsolver6v33100L8set_zeroI19rocblas_complex_numIfEPS3_EEviiT0_iil13rocblas_fill_.has_dyn_sized_stack, 0
	.set _ZN9rocsolver6v33100L8set_zeroI19rocblas_complex_numIfEPS3_EEviiT0_iil13rocblas_fill_.has_recursion, 0
	.set _ZN9rocsolver6v33100L8set_zeroI19rocblas_complex_numIfEPS3_EEviiT0_iil13rocblas_fill_.has_indirect_call, 0
	.section	.AMDGPU.csdata,"",@progbits
; Kernel info:
; codeLenInByte = 300
; TotalNumSgprs: 13
; NumVgprs: 4
; ScratchSize: 0
; MemoryBound: 0
; FloatMode: 240
; IeeeMode: 1
; LDSByteSize: 0 bytes/workgroup (compile time only)
; SGPRBlocks: 1
; VGPRBlocks: 0
; NumSGPRsForWavesPerEU: 13
; NumVGPRsForWavesPerEU: 4
; Occupancy: 10
; WaveLimiterHint : 0
; COMPUTE_PGM_RSRC2:SCRATCH_EN: 0
; COMPUTE_PGM_RSRC2:USER_SGPR: 6
; COMPUTE_PGM_RSRC2:TRAP_HANDLER: 0
; COMPUTE_PGM_RSRC2:TGID_X_EN: 1
; COMPUTE_PGM_RSRC2:TGID_Y_EN: 1
; COMPUTE_PGM_RSRC2:TGID_Z_EN: 1
; COMPUTE_PGM_RSRC2:TIDIG_COMP_CNT: 1
	.section	.text._ZN9rocsolver6v33100L8copy_matI19rocblas_complex_numIfEPS3_S4_NS0_7no_maskEEEviiT0_iilT1_iilT2_13rocblas_fill_17rocblas_diagonal_,"axG",@progbits,_ZN9rocsolver6v33100L8copy_matI19rocblas_complex_numIfEPS3_S4_NS0_7no_maskEEEviiT0_iilT1_iilT2_13rocblas_fill_17rocblas_diagonal_,comdat
	.globl	_ZN9rocsolver6v33100L8copy_matI19rocblas_complex_numIfEPS3_S4_NS0_7no_maskEEEviiT0_iilT1_iilT2_13rocblas_fill_17rocblas_diagonal_ ; -- Begin function _ZN9rocsolver6v33100L8copy_matI19rocblas_complex_numIfEPS3_S4_NS0_7no_maskEEEviiT0_iilT1_iilT2_13rocblas_fill_17rocblas_diagonal_
	.p2align	8
	.type	_ZN9rocsolver6v33100L8copy_matI19rocblas_complex_numIfEPS3_S4_NS0_7no_maskEEEviiT0_iilT1_iilT2_13rocblas_fill_17rocblas_diagonal_,@function
_ZN9rocsolver6v33100L8copy_matI19rocblas_complex_numIfEPS3_S4_NS0_7no_maskEEEviiT0_iilT1_iilT2_13rocblas_fill_17rocblas_diagonal_: ; @_ZN9rocsolver6v33100L8copy_matI19rocblas_complex_numIfEPS3_S4_NS0_7no_maskEEEviiT0_iilT1_iilT2_13rocblas_fill_17rocblas_diagonal_
; %bb.0:
	s_load_dword s2, s[4:5], 0x54
	s_load_dwordx2 s[0:1], s[4:5], 0x0
	s_waitcnt lgkmcnt(0)
	s_lshr_b32 s3, s2, 16
	s_and_b32 s2, s2, 0xffff
	s_mul_i32 s7, s7, s3
	s_mul_i32 s6, s6, s2
	v_add_u32_e32 v1, s7, v1
	v_add_u32_e32 v0, s6, v0
	v_cmp_gt_u32_e32 vcc, s0, v0
	v_cmp_gt_u32_e64 s[0:1], s1, v1
	s_and_b64 s[0:1], s[0:1], vcc
	s_and_saveexec_b64 s[2:3], s[0:1]
	s_cbranch_execz .LBB5_14
; %bb.1:
	s_load_dwordx2 s[2:3], s[4:5], 0x3c
	s_waitcnt lgkmcnt(0)
	s_cmpk_lt_i32 s2, 0x7a
	s_cbranch_scc1 .LBB5_4
; %bb.2:
	s_cmpk_gt_i32 s2, 0x7a
	s_cbranch_scc0 .LBB5_5
; %bb.3:
	s_cmpk_lg_i32 s2, 0x7b
	s_mov_b64 s[6:7], -1
	s_cselect_b64 s[10:11], -1, 0
	s_cbranch_execz .LBB5_6
	s_branch .LBB5_7
.LBB5_4:
	s_mov_b64 s[10:11], 0
	s_mov_b64 s[6:7], 0
	s_cbranch_execnz .LBB5_8
	s_branch .LBB5_10
.LBB5_5:
	s_mov_b64 s[6:7], 0
	s_mov_b64 s[10:11], 0
.LBB5_6:
	v_cmp_gt_u32_e32 vcc, v0, v1
	v_cmp_le_u32_e64 s[0:1], v0, v1
	s_andn2_b64 s[6:7], s[6:7], exec
	s_and_b64 s[12:13], vcc, exec
	s_andn2_b64 s[10:11], s[10:11], exec
	s_and_b64 s[0:1], s[0:1], exec
	s_or_b64 s[6:7], s[6:7], s[12:13]
	s_or_b64 s[10:11], s[10:11], s[0:1]
.LBB5_7:
	s_branch .LBB5_10
.LBB5_8:
	s_cmpk_eq_i32 s2, 0x79
	s_mov_b64 s[10:11], -1
	s_cbranch_scc0 .LBB5_10
; %bb.9:
	v_cmp_gt_u32_e32 vcc, v1, v0
	v_cmp_le_u32_e64 s[0:1], v1, v0
	s_andn2_b64 s[6:7], s[6:7], exec
	s_and_b64 s[10:11], vcc, exec
	s_or_b64 s[6:7], s[6:7], s[10:11]
	s_orn2_b64 s[10:11], s[0:1], exec
.LBB5_10:
	s_and_saveexec_b64 s[0:1], s[10:11]
; %bb.11:
	s_cmpk_eq_i32 s3, 0x83
	s_cselect_b64 s[2:3], -1, 0
	v_cmp_eq_u32_e32 vcc, v0, v1
	s_and_b64 s[2:3], s[2:3], vcc
	s_andn2_b64 s[6:7], s[6:7], exec
	s_and_b64 s[2:3], s[2:3], exec
	s_or_b64 s[6:7], s[6:7], s[2:3]
; %bb.12:
	s_or_b64 exec, exec, s[0:1]
	s_and_b64 exec, exec, s[6:7]
	s_cbranch_execz .LBB5_14
; %bb.13:
	s_load_dwordx8 s[12:19], s[4:5], 0x8
	s_waitcnt lgkmcnt(0)
	s_mul_i32 s3, s17, s8
	s_mul_hi_u32 s6, s16, s8
	s_mul_i32 s2, s16, s8
	s_add_i32 s3, s6, s3
	s_ashr_i32 s1, s14, 31
	s_lshl_b64 s[2:3], s[2:3], 3
	s_add_u32 s6, s12, s2
	s_addc_u32 s7, s13, s3
	v_mad_u64_u32 v[2:3], s[2:3], v1, s15, v[0:1]
	s_mov_b32 s0, s14
	s_lshl_b64 s[0:1], s[0:1], 3
	v_mov_b32_e32 v3, 0
	s_add_u32 s0, s6, s0
	v_lshlrev_b64 v[4:5], 3, v[2:3]
	s_addc_u32 s1, s7, s1
	v_mov_b32_e32 v2, s1
	v_add_co_u32_e32 v4, vcc, s0, v4
	v_addc_co_u32_e32 v5, vcc, v2, v5, vcc
	global_load_dwordx2 v[4:5], v[4:5], off
	s_load_dwordx4 s[0:3], s[4:5], 0x28
	s_waitcnt lgkmcnt(0)
	s_ashr_i32 s5, s0, 31
	s_mov_b32 s4, s0
	s_mul_i32 s0, s3, s8
	s_mul_hi_u32 s3, s2, s8
	s_add_i32 s3, s3, s0
	s_mul_i32 s2, s2, s8
	v_mad_u64_u32 v[0:1], s[0:1], v1, s1, v[0:1]
	s_lshl_b64 s[2:3], s[2:3], 3
	s_add_u32 s6, s18, s2
	s_addc_u32 s7, s19, s3
	s_lshl_b64 s[2:3], s[4:5], 3
	v_mov_b32_e32 v1, v3
	s_add_u32 s0, s6, s2
	v_lshlrev_b64 v[0:1], 3, v[0:1]
	s_addc_u32 s1, s7, s3
	v_mov_b32_e32 v2, s1
	v_add_co_u32_e32 v0, vcc, s0, v0
	v_addc_co_u32_e32 v1, vcc, v2, v1, vcc
	s_waitcnt vmcnt(0)
	global_store_dwordx2 v[0:1], v[4:5], off
.LBB5_14:
	s_endpgm
	.section	.rodata,"a",@progbits
	.p2align	6, 0x0
	.amdhsa_kernel _ZN9rocsolver6v33100L8copy_matI19rocblas_complex_numIfEPS3_S4_NS0_7no_maskEEEviiT0_iilT1_iilT2_13rocblas_fill_17rocblas_diagonal_
		.amdhsa_group_segment_fixed_size 0
		.amdhsa_private_segment_fixed_size 0
		.amdhsa_kernarg_size 328
		.amdhsa_user_sgpr_count 6
		.amdhsa_user_sgpr_private_segment_buffer 1
		.amdhsa_user_sgpr_dispatch_ptr 0
		.amdhsa_user_sgpr_queue_ptr 0
		.amdhsa_user_sgpr_kernarg_segment_ptr 1
		.amdhsa_user_sgpr_dispatch_id 0
		.amdhsa_user_sgpr_flat_scratch_init 0
		.amdhsa_user_sgpr_private_segment_size 0
		.amdhsa_uses_dynamic_stack 0
		.amdhsa_system_sgpr_private_segment_wavefront_offset 0
		.amdhsa_system_sgpr_workgroup_id_x 1
		.amdhsa_system_sgpr_workgroup_id_y 1
		.amdhsa_system_sgpr_workgroup_id_z 1
		.amdhsa_system_sgpr_workgroup_info 0
		.amdhsa_system_vgpr_workitem_id 1
		.amdhsa_next_free_vgpr 6
		.amdhsa_next_free_sgpr 20
		.amdhsa_reserve_vcc 1
		.amdhsa_reserve_flat_scratch 0
		.amdhsa_float_round_mode_32 0
		.amdhsa_float_round_mode_16_64 0
		.amdhsa_float_denorm_mode_32 3
		.amdhsa_float_denorm_mode_16_64 3
		.amdhsa_dx10_clamp 1
		.amdhsa_ieee_mode 1
		.amdhsa_fp16_overflow 0
		.amdhsa_exception_fp_ieee_invalid_op 0
		.amdhsa_exception_fp_denorm_src 0
		.amdhsa_exception_fp_ieee_div_zero 0
		.amdhsa_exception_fp_ieee_overflow 0
		.amdhsa_exception_fp_ieee_underflow 0
		.amdhsa_exception_fp_ieee_inexact 0
		.amdhsa_exception_int_div_zero 0
	.end_amdhsa_kernel
	.section	.text._ZN9rocsolver6v33100L8copy_matI19rocblas_complex_numIfEPS3_S4_NS0_7no_maskEEEviiT0_iilT1_iilT2_13rocblas_fill_17rocblas_diagonal_,"axG",@progbits,_ZN9rocsolver6v33100L8copy_matI19rocblas_complex_numIfEPS3_S4_NS0_7no_maskEEEviiT0_iilT1_iilT2_13rocblas_fill_17rocblas_diagonal_,comdat
.Lfunc_end5:
	.size	_ZN9rocsolver6v33100L8copy_matI19rocblas_complex_numIfEPS3_S4_NS0_7no_maskEEEviiT0_iilT1_iilT2_13rocblas_fill_17rocblas_diagonal_, .Lfunc_end5-_ZN9rocsolver6v33100L8copy_matI19rocblas_complex_numIfEPS3_S4_NS0_7no_maskEEEviiT0_iilT1_iilT2_13rocblas_fill_17rocblas_diagonal_
                                        ; -- End function
	.set _ZN9rocsolver6v33100L8copy_matI19rocblas_complex_numIfEPS3_S4_NS0_7no_maskEEEviiT0_iilT1_iilT2_13rocblas_fill_17rocblas_diagonal_.num_vgpr, 6
	.set _ZN9rocsolver6v33100L8copy_matI19rocblas_complex_numIfEPS3_S4_NS0_7no_maskEEEviiT0_iilT1_iilT2_13rocblas_fill_17rocblas_diagonal_.num_agpr, 0
	.set _ZN9rocsolver6v33100L8copy_matI19rocblas_complex_numIfEPS3_S4_NS0_7no_maskEEEviiT0_iilT1_iilT2_13rocblas_fill_17rocblas_diagonal_.numbered_sgpr, 20
	.set _ZN9rocsolver6v33100L8copy_matI19rocblas_complex_numIfEPS3_S4_NS0_7no_maskEEEviiT0_iilT1_iilT2_13rocblas_fill_17rocblas_diagonal_.num_named_barrier, 0
	.set _ZN9rocsolver6v33100L8copy_matI19rocblas_complex_numIfEPS3_S4_NS0_7no_maskEEEviiT0_iilT1_iilT2_13rocblas_fill_17rocblas_diagonal_.private_seg_size, 0
	.set _ZN9rocsolver6v33100L8copy_matI19rocblas_complex_numIfEPS3_S4_NS0_7no_maskEEEviiT0_iilT1_iilT2_13rocblas_fill_17rocblas_diagonal_.uses_vcc, 1
	.set _ZN9rocsolver6v33100L8copy_matI19rocblas_complex_numIfEPS3_S4_NS0_7no_maskEEEviiT0_iilT1_iilT2_13rocblas_fill_17rocblas_diagonal_.uses_flat_scratch, 0
	.set _ZN9rocsolver6v33100L8copy_matI19rocblas_complex_numIfEPS3_S4_NS0_7no_maskEEEviiT0_iilT1_iilT2_13rocblas_fill_17rocblas_diagonal_.has_dyn_sized_stack, 0
	.set _ZN9rocsolver6v33100L8copy_matI19rocblas_complex_numIfEPS3_S4_NS0_7no_maskEEEviiT0_iilT1_iilT2_13rocblas_fill_17rocblas_diagonal_.has_recursion, 0
	.set _ZN9rocsolver6v33100L8copy_matI19rocblas_complex_numIfEPS3_S4_NS0_7no_maskEEEviiT0_iilT1_iilT2_13rocblas_fill_17rocblas_diagonal_.has_indirect_call, 0
	.section	.AMDGPU.csdata,"",@progbits
; Kernel info:
; codeLenInByte = 476
; TotalNumSgprs: 24
; NumVgprs: 6
; ScratchSize: 0
; MemoryBound: 0
; FloatMode: 240
; IeeeMode: 1
; LDSByteSize: 0 bytes/workgroup (compile time only)
; SGPRBlocks: 2
; VGPRBlocks: 1
; NumSGPRsForWavesPerEU: 24
; NumVGPRsForWavesPerEU: 6
; Occupancy: 10
; WaveLimiterHint : 0
; COMPUTE_PGM_RSRC2:SCRATCH_EN: 0
; COMPUTE_PGM_RSRC2:USER_SGPR: 6
; COMPUTE_PGM_RSRC2:TRAP_HANDLER: 0
; COMPUTE_PGM_RSRC2:TGID_X_EN: 1
; COMPUTE_PGM_RSRC2:TGID_Y_EN: 1
; COMPUTE_PGM_RSRC2:TGID_Z_EN: 1
; COMPUTE_PGM_RSRC2:TIDIG_COMP_CNT: 1
	.section	.text._ZN9rocsolver6v33100L8set_zeroI19rocblas_complex_numIdEPS3_EEviiT0_iil13rocblas_fill_,"axG",@progbits,_ZN9rocsolver6v33100L8set_zeroI19rocblas_complex_numIdEPS3_EEviiT0_iil13rocblas_fill_,comdat
	.globl	_ZN9rocsolver6v33100L8set_zeroI19rocblas_complex_numIdEPS3_EEviiT0_iil13rocblas_fill_ ; -- Begin function _ZN9rocsolver6v33100L8set_zeroI19rocblas_complex_numIdEPS3_EEviiT0_iil13rocblas_fill_
	.p2align	8
	.type	_ZN9rocsolver6v33100L8set_zeroI19rocblas_complex_numIdEPS3_EEviiT0_iil13rocblas_fill_,@function
_ZN9rocsolver6v33100L8set_zeroI19rocblas_complex_numIdEPS3_EEviiT0_iil13rocblas_fill_: ; @_ZN9rocsolver6v33100L8set_zeroI19rocblas_complex_numIdEPS3_EEviiT0_iil13rocblas_fill_
; %bb.0:
	s_load_dword s2, s[4:5], 0x34
	s_load_dwordx2 s[0:1], s[4:5], 0x0
	s_waitcnt lgkmcnt(0)
	s_lshr_b32 s3, s2, 16
	s_and_b32 s2, s2, 0xffff
	s_mul_i32 s6, s6, s2
	s_mul_i32 s7, s7, s3
	v_add_u32_e32 v0, s6, v0
	v_add_u32_e32 v1, s7, v1
	v_cmp_gt_u32_e32 vcc, s0, v0
	v_cmp_gt_u32_e64 s[0:1], s1, v1
	s_and_b64 s[0:1], vcc, s[0:1]
	s_and_saveexec_b64 s[2:3], s[0:1]
	s_cbranch_execz .LBB6_12
; %bb.1:
	s_load_dword s6, s[4:5], 0x20
	s_waitcnt lgkmcnt(0)
	s_cmpk_lt_i32 s6, 0x7a
	s_cbranch_scc1 .LBB6_4
; %bb.2:
	s_cmpk_gt_i32 s6, 0x7a
	s_cbranch_scc0 .LBB6_5
; %bb.3:
	s_cmpk_eq_i32 s6, 0x7b
	s_cselect_b64 s[0:1], -1, 0
	s_cbranch_execz .LBB6_6
	s_branch .LBB6_7
.LBB6_4:
	s_mov_b64 s[0:1], 0
	s_cbranch_execnz .LBB6_8
	s_branch .LBB6_10
.LBB6_5:
	s_mov_b64 s[0:1], 0
.LBB6_6:
	v_cmp_gt_u32_e32 vcc, v1, v0
	s_andn2_b64 s[0:1], s[0:1], exec
	s_and_b64 s[2:3], vcc, exec
	s_or_b64 s[0:1], s[0:1], s[2:3]
.LBB6_7:
	s_branch .LBB6_10
.LBB6_8:
	s_cmpk_eq_i32 s6, 0x79
	s_cbranch_scc0 .LBB6_10
; %bb.9:
	v_cmp_gt_u32_e32 vcc, v0, v1
	s_andn2_b64 s[0:1], s[0:1], exec
	s_and_b64 s[2:3], vcc, exec
	s_or_b64 s[0:1], s[0:1], s[2:3]
.LBB6_10:
	s_and_b64 exec, exec, s[0:1]
	s_cbranch_execz .LBB6_12
; %bb.11:
	s_load_dwordx4 s[0:3], s[4:5], 0x8
	s_load_dwordx2 s[6:7], s[4:5], 0x18
	s_waitcnt lgkmcnt(0)
	s_ashr_i32 s5, s2, 31
	s_mov_b32 s4, s2
	s_mul_i32 s2, s7, s8
	s_mul_hi_u32 s7, s6, s8
	s_add_i32 s7, s7, s2
	s_mul_i32 s6, s6, s8
	v_mad_u64_u32 v[0:1], s[2:3], v1, s3, v[0:1]
	s_lshl_b64 s[6:7], s[6:7], 4
	s_add_u32 s6, s0, s6
	s_addc_u32 s7, s1, s7
	s_lshl_b64 s[0:1], s[4:5], 4
	v_mov_b32_e32 v1, 0
	s_add_u32 s0, s6, s0
	v_lshlrev_b64 v[2:3], 4, v[0:1]
	s_addc_u32 s1, s7, s1
	v_mov_b32_e32 v0, s1
	v_add_co_u32_e32 v4, vcc, s0, v2
	v_addc_co_u32_e32 v5, vcc, v0, v3, vcc
	v_mov_b32_e32 v0, v1
	v_mov_b32_e32 v2, v1
	;; [unrolled: 1-line block ×3, first 2 shown]
	global_store_dwordx4 v[4:5], v[0:3], off
.LBB6_12:
	s_endpgm
	.section	.rodata,"a",@progbits
	.p2align	6, 0x0
	.amdhsa_kernel _ZN9rocsolver6v33100L8set_zeroI19rocblas_complex_numIdEPS3_EEviiT0_iil13rocblas_fill_
		.amdhsa_group_segment_fixed_size 0
		.amdhsa_private_segment_fixed_size 0
		.amdhsa_kernarg_size 296
		.amdhsa_user_sgpr_count 6
		.amdhsa_user_sgpr_private_segment_buffer 1
		.amdhsa_user_sgpr_dispatch_ptr 0
		.amdhsa_user_sgpr_queue_ptr 0
		.amdhsa_user_sgpr_kernarg_segment_ptr 1
		.amdhsa_user_sgpr_dispatch_id 0
		.amdhsa_user_sgpr_flat_scratch_init 0
		.amdhsa_user_sgpr_private_segment_size 0
		.amdhsa_uses_dynamic_stack 0
		.amdhsa_system_sgpr_private_segment_wavefront_offset 0
		.amdhsa_system_sgpr_workgroup_id_x 1
		.amdhsa_system_sgpr_workgroup_id_y 1
		.amdhsa_system_sgpr_workgroup_id_z 1
		.amdhsa_system_sgpr_workgroup_info 0
		.amdhsa_system_vgpr_workitem_id 1
		.amdhsa_next_free_vgpr 6
		.amdhsa_next_free_sgpr 9
		.amdhsa_reserve_vcc 1
		.amdhsa_reserve_flat_scratch 0
		.amdhsa_float_round_mode_32 0
		.amdhsa_float_round_mode_16_64 0
		.amdhsa_float_denorm_mode_32 3
		.amdhsa_float_denorm_mode_16_64 3
		.amdhsa_dx10_clamp 1
		.amdhsa_ieee_mode 1
		.amdhsa_fp16_overflow 0
		.amdhsa_exception_fp_ieee_invalid_op 0
		.amdhsa_exception_fp_denorm_src 0
		.amdhsa_exception_fp_ieee_div_zero 0
		.amdhsa_exception_fp_ieee_overflow 0
		.amdhsa_exception_fp_ieee_underflow 0
		.amdhsa_exception_fp_ieee_inexact 0
		.amdhsa_exception_int_div_zero 0
	.end_amdhsa_kernel
	.section	.text._ZN9rocsolver6v33100L8set_zeroI19rocblas_complex_numIdEPS3_EEviiT0_iil13rocblas_fill_,"axG",@progbits,_ZN9rocsolver6v33100L8set_zeroI19rocblas_complex_numIdEPS3_EEviiT0_iil13rocblas_fill_,comdat
.Lfunc_end6:
	.size	_ZN9rocsolver6v33100L8set_zeroI19rocblas_complex_numIdEPS3_EEviiT0_iil13rocblas_fill_, .Lfunc_end6-_ZN9rocsolver6v33100L8set_zeroI19rocblas_complex_numIdEPS3_EEviiT0_iil13rocblas_fill_
                                        ; -- End function
	.set _ZN9rocsolver6v33100L8set_zeroI19rocblas_complex_numIdEPS3_EEviiT0_iil13rocblas_fill_.num_vgpr, 6
	.set _ZN9rocsolver6v33100L8set_zeroI19rocblas_complex_numIdEPS3_EEviiT0_iil13rocblas_fill_.num_agpr, 0
	.set _ZN9rocsolver6v33100L8set_zeroI19rocblas_complex_numIdEPS3_EEviiT0_iil13rocblas_fill_.numbered_sgpr, 9
	.set _ZN9rocsolver6v33100L8set_zeroI19rocblas_complex_numIdEPS3_EEviiT0_iil13rocblas_fill_.num_named_barrier, 0
	.set _ZN9rocsolver6v33100L8set_zeroI19rocblas_complex_numIdEPS3_EEviiT0_iil13rocblas_fill_.private_seg_size, 0
	.set _ZN9rocsolver6v33100L8set_zeroI19rocblas_complex_numIdEPS3_EEviiT0_iil13rocblas_fill_.uses_vcc, 1
	.set _ZN9rocsolver6v33100L8set_zeroI19rocblas_complex_numIdEPS3_EEviiT0_iil13rocblas_fill_.uses_flat_scratch, 0
	.set _ZN9rocsolver6v33100L8set_zeroI19rocblas_complex_numIdEPS3_EEviiT0_iil13rocblas_fill_.has_dyn_sized_stack, 0
	.set _ZN9rocsolver6v33100L8set_zeroI19rocblas_complex_numIdEPS3_EEviiT0_iil13rocblas_fill_.has_recursion, 0
	.set _ZN9rocsolver6v33100L8set_zeroI19rocblas_complex_numIdEPS3_EEviiT0_iil13rocblas_fill_.has_indirect_call, 0
	.section	.AMDGPU.csdata,"",@progbits
; Kernel info:
; codeLenInByte = 308
; TotalNumSgprs: 13
; NumVgprs: 6
; ScratchSize: 0
; MemoryBound: 0
; FloatMode: 240
; IeeeMode: 1
; LDSByteSize: 0 bytes/workgroup (compile time only)
; SGPRBlocks: 1
; VGPRBlocks: 1
; NumSGPRsForWavesPerEU: 13
; NumVGPRsForWavesPerEU: 6
; Occupancy: 10
; WaveLimiterHint : 0
; COMPUTE_PGM_RSRC2:SCRATCH_EN: 0
; COMPUTE_PGM_RSRC2:USER_SGPR: 6
; COMPUTE_PGM_RSRC2:TRAP_HANDLER: 0
; COMPUTE_PGM_RSRC2:TGID_X_EN: 1
; COMPUTE_PGM_RSRC2:TGID_Y_EN: 1
; COMPUTE_PGM_RSRC2:TGID_Z_EN: 1
; COMPUTE_PGM_RSRC2:TIDIG_COMP_CNT: 1
	.section	.text._ZN9rocsolver6v33100L8copy_matI19rocblas_complex_numIdEPS3_S4_NS0_7no_maskEEEviiT0_iilT1_iilT2_13rocblas_fill_17rocblas_diagonal_,"axG",@progbits,_ZN9rocsolver6v33100L8copy_matI19rocblas_complex_numIdEPS3_S4_NS0_7no_maskEEEviiT0_iilT1_iilT2_13rocblas_fill_17rocblas_diagonal_,comdat
	.globl	_ZN9rocsolver6v33100L8copy_matI19rocblas_complex_numIdEPS3_S4_NS0_7no_maskEEEviiT0_iilT1_iilT2_13rocblas_fill_17rocblas_diagonal_ ; -- Begin function _ZN9rocsolver6v33100L8copy_matI19rocblas_complex_numIdEPS3_S4_NS0_7no_maskEEEviiT0_iilT1_iilT2_13rocblas_fill_17rocblas_diagonal_
	.p2align	8
	.type	_ZN9rocsolver6v33100L8copy_matI19rocblas_complex_numIdEPS3_S4_NS0_7no_maskEEEviiT0_iilT1_iilT2_13rocblas_fill_17rocblas_diagonal_,@function
_ZN9rocsolver6v33100L8copy_matI19rocblas_complex_numIdEPS3_S4_NS0_7no_maskEEEviiT0_iilT1_iilT2_13rocblas_fill_17rocblas_diagonal_: ; @_ZN9rocsolver6v33100L8copy_matI19rocblas_complex_numIdEPS3_S4_NS0_7no_maskEEEviiT0_iilT1_iilT2_13rocblas_fill_17rocblas_diagonal_
; %bb.0:
	s_load_dword s2, s[4:5], 0x54
	s_load_dwordx2 s[0:1], s[4:5], 0x0
	s_waitcnt lgkmcnt(0)
	s_lshr_b32 s3, s2, 16
	s_and_b32 s2, s2, 0xffff
	s_mul_i32 s7, s7, s3
	s_mul_i32 s6, s6, s2
	v_add_u32_e32 v1, s7, v1
	v_add_u32_e32 v0, s6, v0
	v_cmp_gt_u32_e32 vcc, s0, v0
	v_cmp_gt_u32_e64 s[0:1], s1, v1
	s_and_b64 s[0:1], s[0:1], vcc
	s_and_saveexec_b64 s[2:3], s[0:1]
	s_cbranch_execz .LBB7_14
; %bb.1:
	s_load_dwordx2 s[2:3], s[4:5], 0x3c
	s_waitcnt lgkmcnt(0)
	s_cmpk_lt_i32 s2, 0x7a
	s_cbranch_scc1 .LBB7_4
; %bb.2:
	s_cmpk_gt_i32 s2, 0x7a
	s_cbranch_scc0 .LBB7_5
; %bb.3:
	s_cmpk_lg_i32 s2, 0x7b
	s_mov_b64 s[6:7], -1
	s_cselect_b64 s[10:11], -1, 0
	s_cbranch_execz .LBB7_6
	s_branch .LBB7_7
.LBB7_4:
	s_mov_b64 s[10:11], 0
	s_mov_b64 s[6:7], 0
	s_cbranch_execnz .LBB7_8
	s_branch .LBB7_10
.LBB7_5:
	s_mov_b64 s[6:7], 0
	s_mov_b64 s[10:11], 0
.LBB7_6:
	v_cmp_gt_u32_e32 vcc, v0, v1
	v_cmp_le_u32_e64 s[0:1], v0, v1
	s_andn2_b64 s[6:7], s[6:7], exec
	s_and_b64 s[12:13], vcc, exec
	s_andn2_b64 s[10:11], s[10:11], exec
	s_and_b64 s[0:1], s[0:1], exec
	s_or_b64 s[6:7], s[6:7], s[12:13]
	s_or_b64 s[10:11], s[10:11], s[0:1]
.LBB7_7:
	s_branch .LBB7_10
.LBB7_8:
	s_cmpk_eq_i32 s2, 0x79
	s_mov_b64 s[10:11], -1
	s_cbranch_scc0 .LBB7_10
; %bb.9:
	v_cmp_gt_u32_e32 vcc, v1, v0
	v_cmp_le_u32_e64 s[0:1], v1, v0
	s_andn2_b64 s[6:7], s[6:7], exec
	s_and_b64 s[10:11], vcc, exec
	s_or_b64 s[6:7], s[6:7], s[10:11]
	s_orn2_b64 s[10:11], s[0:1], exec
.LBB7_10:
	s_and_saveexec_b64 s[0:1], s[10:11]
; %bb.11:
	s_cmpk_eq_i32 s3, 0x83
	s_cselect_b64 s[2:3], -1, 0
	v_cmp_eq_u32_e32 vcc, v0, v1
	s_and_b64 s[2:3], s[2:3], vcc
	s_andn2_b64 s[6:7], s[6:7], exec
	s_and_b64 s[2:3], s[2:3], exec
	s_or_b64 s[6:7], s[6:7], s[2:3]
; %bb.12:
	s_or_b64 exec, exec, s[0:1]
	s_and_b64 exec, exec, s[6:7]
	s_cbranch_execz .LBB7_14
; %bb.13:
	s_load_dwordx8 s[12:19], s[4:5], 0x8
	s_waitcnt lgkmcnt(0)
	s_mul_i32 s3, s17, s8
	s_mul_hi_u32 s6, s16, s8
	s_mul_i32 s2, s16, s8
	s_add_i32 s3, s6, s3
	s_ashr_i32 s1, s14, 31
	s_lshl_b64 s[2:3], s[2:3], 4
	s_add_u32 s6, s12, s2
	s_addc_u32 s7, s13, s3
	v_mad_u64_u32 v[5:6], s[2:3], v1, s15, v[0:1]
	s_mov_b32 s0, s14
	s_lshl_b64 s[0:1], s[0:1], 4
	v_mov_b32_e32 v6, 0
	s_add_u32 s0, s6, s0
	v_lshlrev_b64 v[2:3], 4, v[5:6]
	s_addc_u32 s1, s7, s1
	v_mov_b32_e32 v4, s1
	v_add_co_u32_e32 v2, vcc, s0, v2
	v_addc_co_u32_e32 v3, vcc, v4, v3, vcc
	global_load_dwordx4 v[2:5], v[2:3], off
	s_load_dwordx4 s[0:3], s[4:5], 0x28
	s_waitcnt lgkmcnt(0)
	s_ashr_i32 s5, s0, 31
	s_mov_b32 s4, s0
	s_mul_i32 s0, s3, s8
	s_mul_hi_u32 s3, s2, s8
	s_add_i32 s3, s3, s0
	s_mul_i32 s2, s2, s8
	v_mad_u64_u32 v[0:1], s[0:1], v1, s1, v[0:1]
	s_lshl_b64 s[2:3], s[2:3], 4
	s_add_u32 s6, s18, s2
	s_addc_u32 s7, s19, s3
	s_lshl_b64 s[2:3], s[4:5], 4
	v_mov_b32_e32 v1, v6
	s_add_u32 s0, s6, s2
	v_lshlrev_b64 v[0:1], 4, v[0:1]
	s_addc_u32 s1, s7, s3
	v_mov_b32_e32 v6, s1
	v_add_co_u32_e32 v0, vcc, s0, v0
	v_addc_co_u32_e32 v1, vcc, v6, v1, vcc
	s_waitcnt vmcnt(0)
	global_store_dwordx4 v[0:1], v[2:5], off
.LBB7_14:
	s_endpgm
	.section	.rodata,"a",@progbits
	.p2align	6, 0x0
	.amdhsa_kernel _ZN9rocsolver6v33100L8copy_matI19rocblas_complex_numIdEPS3_S4_NS0_7no_maskEEEviiT0_iilT1_iilT2_13rocblas_fill_17rocblas_diagonal_
		.amdhsa_group_segment_fixed_size 0
		.amdhsa_private_segment_fixed_size 0
		.amdhsa_kernarg_size 328
		.amdhsa_user_sgpr_count 6
		.amdhsa_user_sgpr_private_segment_buffer 1
		.amdhsa_user_sgpr_dispatch_ptr 0
		.amdhsa_user_sgpr_queue_ptr 0
		.amdhsa_user_sgpr_kernarg_segment_ptr 1
		.amdhsa_user_sgpr_dispatch_id 0
		.amdhsa_user_sgpr_flat_scratch_init 0
		.amdhsa_user_sgpr_private_segment_size 0
		.amdhsa_uses_dynamic_stack 0
		.amdhsa_system_sgpr_private_segment_wavefront_offset 0
		.amdhsa_system_sgpr_workgroup_id_x 1
		.amdhsa_system_sgpr_workgroup_id_y 1
		.amdhsa_system_sgpr_workgroup_id_z 1
		.amdhsa_system_sgpr_workgroup_info 0
		.amdhsa_system_vgpr_workitem_id 1
		.amdhsa_next_free_vgpr 7
		.amdhsa_next_free_sgpr 20
		.amdhsa_reserve_vcc 1
		.amdhsa_reserve_flat_scratch 0
		.amdhsa_float_round_mode_32 0
		.amdhsa_float_round_mode_16_64 0
		.amdhsa_float_denorm_mode_32 3
		.amdhsa_float_denorm_mode_16_64 3
		.amdhsa_dx10_clamp 1
		.amdhsa_ieee_mode 1
		.amdhsa_fp16_overflow 0
		.amdhsa_exception_fp_ieee_invalid_op 0
		.amdhsa_exception_fp_denorm_src 0
		.amdhsa_exception_fp_ieee_div_zero 0
		.amdhsa_exception_fp_ieee_overflow 0
		.amdhsa_exception_fp_ieee_underflow 0
		.amdhsa_exception_fp_ieee_inexact 0
		.amdhsa_exception_int_div_zero 0
	.end_amdhsa_kernel
	.section	.text._ZN9rocsolver6v33100L8copy_matI19rocblas_complex_numIdEPS3_S4_NS0_7no_maskEEEviiT0_iilT1_iilT2_13rocblas_fill_17rocblas_diagonal_,"axG",@progbits,_ZN9rocsolver6v33100L8copy_matI19rocblas_complex_numIdEPS3_S4_NS0_7no_maskEEEviiT0_iilT1_iilT2_13rocblas_fill_17rocblas_diagonal_,comdat
.Lfunc_end7:
	.size	_ZN9rocsolver6v33100L8copy_matI19rocblas_complex_numIdEPS3_S4_NS0_7no_maskEEEviiT0_iilT1_iilT2_13rocblas_fill_17rocblas_diagonal_, .Lfunc_end7-_ZN9rocsolver6v33100L8copy_matI19rocblas_complex_numIdEPS3_S4_NS0_7no_maskEEEviiT0_iilT1_iilT2_13rocblas_fill_17rocblas_diagonal_
                                        ; -- End function
	.set _ZN9rocsolver6v33100L8copy_matI19rocblas_complex_numIdEPS3_S4_NS0_7no_maskEEEviiT0_iilT1_iilT2_13rocblas_fill_17rocblas_diagonal_.num_vgpr, 7
	.set _ZN9rocsolver6v33100L8copy_matI19rocblas_complex_numIdEPS3_S4_NS0_7no_maskEEEviiT0_iilT1_iilT2_13rocblas_fill_17rocblas_diagonal_.num_agpr, 0
	.set _ZN9rocsolver6v33100L8copy_matI19rocblas_complex_numIdEPS3_S4_NS0_7no_maskEEEviiT0_iilT1_iilT2_13rocblas_fill_17rocblas_diagonal_.numbered_sgpr, 20
	.set _ZN9rocsolver6v33100L8copy_matI19rocblas_complex_numIdEPS3_S4_NS0_7no_maskEEEviiT0_iilT1_iilT2_13rocblas_fill_17rocblas_diagonal_.num_named_barrier, 0
	.set _ZN9rocsolver6v33100L8copy_matI19rocblas_complex_numIdEPS3_S4_NS0_7no_maskEEEviiT0_iilT1_iilT2_13rocblas_fill_17rocblas_diagonal_.private_seg_size, 0
	.set _ZN9rocsolver6v33100L8copy_matI19rocblas_complex_numIdEPS3_S4_NS0_7no_maskEEEviiT0_iilT1_iilT2_13rocblas_fill_17rocblas_diagonal_.uses_vcc, 1
	.set _ZN9rocsolver6v33100L8copy_matI19rocblas_complex_numIdEPS3_S4_NS0_7no_maskEEEviiT0_iilT1_iilT2_13rocblas_fill_17rocblas_diagonal_.uses_flat_scratch, 0
	.set _ZN9rocsolver6v33100L8copy_matI19rocblas_complex_numIdEPS3_S4_NS0_7no_maskEEEviiT0_iilT1_iilT2_13rocblas_fill_17rocblas_diagonal_.has_dyn_sized_stack, 0
	.set _ZN9rocsolver6v33100L8copy_matI19rocblas_complex_numIdEPS3_S4_NS0_7no_maskEEEviiT0_iilT1_iilT2_13rocblas_fill_17rocblas_diagonal_.has_recursion, 0
	.set _ZN9rocsolver6v33100L8copy_matI19rocblas_complex_numIdEPS3_S4_NS0_7no_maskEEEviiT0_iilT1_iilT2_13rocblas_fill_17rocblas_diagonal_.has_indirect_call, 0
	.section	.AMDGPU.csdata,"",@progbits
; Kernel info:
; codeLenInByte = 476
; TotalNumSgprs: 24
; NumVgprs: 7
; ScratchSize: 0
; MemoryBound: 0
; FloatMode: 240
; IeeeMode: 1
; LDSByteSize: 0 bytes/workgroup (compile time only)
; SGPRBlocks: 2
; VGPRBlocks: 1
; NumSGPRsForWavesPerEU: 24
; NumVGPRsForWavesPerEU: 7
; Occupancy: 10
; WaveLimiterHint : 0
; COMPUTE_PGM_RSRC2:SCRATCH_EN: 0
; COMPUTE_PGM_RSRC2:USER_SGPR: 6
; COMPUTE_PGM_RSRC2:TRAP_HANDLER: 0
; COMPUTE_PGM_RSRC2:TGID_X_EN: 1
; COMPUTE_PGM_RSRC2:TGID_Y_EN: 1
; COMPUTE_PGM_RSRC2:TGID_Z_EN: 1
; COMPUTE_PGM_RSRC2:TIDIG_COMP_CNT: 1
	.section	.AMDGPU.gpr_maximums,"",@progbits
	.set amdgpu.max_num_vgpr, 0
	.set amdgpu.max_num_agpr, 0
	.set amdgpu.max_num_sgpr, 0
	.section	.AMDGPU.csdata,"",@progbits
	.type	__hip_cuid_f5211a20929839c7,@object ; @__hip_cuid_f5211a20929839c7
	.section	.bss,"aw",@nobits
	.globl	__hip_cuid_f5211a20929839c7
__hip_cuid_f5211a20929839c7:
	.byte	0                               ; 0x0
	.size	__hip_cuid_f5211a20929839c7, 1

	.ident	"AMD clang version 22.0.0git (https://github.com/RadeonOpenCompute/llvm-project roc-7.2.4 26084 f58b06dce1f9c15707c5f808fd002e18c2accf7e)"
	.section	".note.GNU-stack","",@progbits
	.addrsig
	.addrsig_sym __hip_cuid_f5211a20929839c7
	.amdgpu_metadata
---
amdhsa.kernels:
  - .args:
      - .offset:         0
        .size:           4
        .value_kind:     by_value
      - .offset:         4
        .size:           4
        .value_kind:     by_value
      - .address_space:  global
        .offset:         8
        .size:           8
        .value_kind:     global_buffer
      - .offset:         16
        .size:           4
        .value_kind:     by_value
      - .offset:         20
        .size:           4
        .value_kind:     by_value
      - .offset:         24
        .size:           8
        .value_kind:     by_value
      - .offset:         32
        .size:           4
        .value_kind:     by_value
      - .offset:         40
        .size:           4
        .value_kind:     hidden_block_count_x
      - .offset:         44
        .size:           4
        .value_kind:     hidden_block_count_y
      - .offset:         48
        .size:           4
        .value_kind:     hidden_block_count_z
      - .offset:         52
        .size:           2
        .value_kind:     hidden_group_size_x
      - .offset:         54
        .size:           2
        .value_kind:     hidden_group_size_y
      - .offset:         56
        .size:           2
        .value_kind:     hidden_group_size_z
      - .offset:         58
        .size:           2
        .value_kind:     hidden_remainder_x
      - .offset:         60
        .size:           2
        .value_kind:     hidden_remainder_y
      - .offset:         62
        .size:           2
        .value_kind:     hidden_remainder_z
      - .offset:         80
        .size:           8
        .value_kind:     hidden_global_offset_x
      - .offset:         88
        .size:           8
        .value_kind:     hidden_global_offset_y
      - .offset:         96
        .size:           8
        .value_kind:     hidden_global_offset_z
      - .offset:         104
        .size:           2
        .value_kind:     hidden_grid_dims
    .group_segment_fixed_size: 0
    .kernarg_segment_align: 8
    .kernarg_segment_size: 296
    .language:       OpenCL C
    .language_version:
      - 2
      - 0
    .max_flat_workgroup_size: 1024
    .name:           _ZN9rocsolver6v33100L8set_zeroIfPfEEviiT0_iil13rocblas_fill_
    .private_segment_fixed_size: 0
    .sgpr_count:     13
    .sgpr_spill_count: 0
    .symbol:         _ZN9rocsolver6v33100L8set_zeroIfPfEEviiT0_iil13rocblas_fill_.kd
    .uniform_work_group_size: 1
    .uses_dynamic_stack: false
    .vgpr_count:     4
    .vgpr_spill_count: 0
    .wavefront_size: 64
  - .args:
      - .offset:         0
        .size:           4
        .value_kind:     by_value
      - .offset:         4
        .size:           4
        .value_kind:     by_value
      - .address_space:  global
        .offset:         8
        .size:           8
        .value_kind:     global_buffer
      - .offset:         16
        .size:           4
        .value_kind:     by_value
      - .offset:         20
        .size:           4
        .value_kind:     by_value
      - .offset:         24
        .size:           8
        .value_kind:     by_value
      - .address_space:  global
        .offset:         32
        .size:           8
        .value_kind:     global_buffer
      - .offset:         40
        .size:           4
        .value_kind:     by_value
      - .offset:         44
        .size:           4
        .value_kind:     by_value
      - .offset:         48
        .size:           8
        .value_kind:     by_value
      - .offset:         56
        .size:           1
        .value_kind:     by_value
      - .offset:         60
        .size:           4
        .value_kind:     by_value
      - .offset:         64
        .size:           4
        .value_kind:     by_value
      - .offset:         72
        .size:           4
        .value_kind:     hidden_block_count_x
      - .offset:         76
        .size:           4
        .value_kind:     hidden_block_count_y
      - .offset:         80
        .size:           4
        .value_kind:     hidden_block_count_z
      - .offset:         84
        .size:           2
        .value_kind:     hidden_group_size_x
      - .offset:         86
        .size:           2
        .value_kind:     hidden_group_size_y
      - .offset:         88
        .size:           2
        .value_kind:     hidden_group_size_z
      - .offset:         90
        .size:           2
        .value_kind:     hidden_remainder_x
      - .offset:         92
        .size:           2
        .value_kind:     hidden_remainder_y
      - .offset:         94
        .size:           2
        .value_kind:     hidden_remainder_z
      - .offset:         112
        .size:           8
        .value_kind:     hidden_global_offset_x
      - .offset:         120
        .size:           8
        .value_kind:     hidden_global_offset_y
      - .offset:         128
        .size:           8
        .value_kind:     hidden_global_offset_z
      - .offset:         136
        .size:           2
        .value_kind:     hidden_grid_dims
    .group_segment_fixed_size: 0
    .kernarg_segment_align: 8
    .kernarg_segment_size: 328
    .language:       OpenCL C
    .language_version:
      - 2
      - 0
    .max_flat_workgroup_size: 1024
    .name:           _ZN9rocsolver6v33100L8copy_matIfPfS2_NS0_7no_maskEEEviiT0_iilT1_iilT2_13rocblas_fill_17rocblas_diagonal_
    .private_segment_fixed_size: 0
    .sgpr_count:     24
    .sgpr_spill_count: 0
    .symbol:         _ZN9rocsolver6v33100L8copy_matIfPfS2_NS0_7no_maskEEEviiT0_iilT1_iilT2_13rocblas_fill_17rocblas_diagonal_.kd
    .uniform_work_group_size: 1
    .uses_dynamic_stack: false
    .vgpr_count:     6
    .vgpr_spill_count: 0
    .wavefront_size: 64
  - .args:
      - .offset:         0
        .size:           4
        .value_kind:     by_value
      - .offset:         4
        .size:           4
        .value_kind:     by_value
      - .address_space:  global
        .offset:         8
        .size:           8
        .value_kind:     global_buffer
      - .offset:         16
        .size:           4
        .value_kind:     by_value
      - .offset:         20
        .size:           4
        .value_kind:     by_value
      - .offset:         24
        .size:           8
        .value_kind:     by_value
      - .offset:         32
        .size:           4
        .value_kind:     by_value
      - .offset:         40
        .size:           4
        .value_kind:     hidden_block_count_x
      - .offset:         44
        .size:           4
        .value_kind:     hidden_block_count_y
      - .offset:         48
        .size:           4
        .value_kind:     hidden_block_count_z
      - .offset:         52
        .size:           2
        .value_kind:     hidden_group_size_x
      - .offset:         54
        .size:           2
        .value_kind:     hidden_group_size_y
      - .offset:         56
        .size:           2
        .value_kind:     hidden_group_size_z
      - .offset:         58
        .size:           2
        .value_kind:     hidden_remainder_x
      - .offset:         60
        .size:           2
        .value_kind:     hidden_remainder_y
      - .offset:         62
        .size:           2
        .value_kind:     hidden_remainder_z
      - .offset:         80
        .size:           8
        .value_kind:     hidden_global_offset_x
      - .offset:         88
        .size:           8
        .value_kind:     hidden_global_offset_y
      - .offset:         96
        .size:           8
        .value_kind:     hidden_global_offset_z
      - .offset:         104
        .size:           2
        .value_kind:     hidden_grid_dims
    .group_segment_fixed_size: 0
    .kernarg_segment_align: 8
    .kernarg_segment_size: 296
    .language:       OpenCL C
    .language_version:
      - 2
      - 0
    .max_flat_workgroup_size: 1024
    .name:           _ZN9rocsolver6v33100L8set_zeroIdPdEEviiT0_iil13rocblas_fill_
    .private_segment_fixed_size: 0
    .sgpr_count:     13
    .sgpr_spill_count: 0
    .symbol:         _ZN9rocsolver6v33100L8set_zeroIdPdEEviiT0_iil13rocblas_fill_.kd
    .uniform_work_group_size: 1
    .uses_dynamic_stack: false
    .vgpr_count:     4
    .vgpr_spill_count: 0
    .wavefront_size: 64
  - .args:
      - .offset:         0
        .size:           4
        .value_kind:     by_value
      - .offset:         4
        .size:           4
        .value_kind:     by_value
      - .address_space:  global
        .offset:         8
        .size:           8
        .value_kind:     global_buffer
      - .offset:         16
        .size:           4
        .value_kind:     by_value
      - .offset:         20
        .size:           4
        .value_kind:     by_value
      - .offset:         24
        .size:           8
        .value_kind:     by_value
      - .address_space:  global
        .offset:         32
        .size:           8
        .value_kind:     global_buffer
      - .offset:         40
        .size:           4
        .value_kind:     by_value
      - .offset:         44
        .size:           4
        .value_kind:     by_value
      - .offset:         48
        .size:           8
        .value_kind:     by_value
      - .offset:         56
        .size:           1
        .value_kind:     by_value
      - .offset:         60
        .size:           4
        .value_kind:     by_value
      - .offset:         64
        .size:           4
        .value_kind:     by_value
      - .offset:         72
        .size:           4
        .value_kind:     hidden_block_count_x
      - .offset:         76
        .size:           4
        .value_kind:     hidden_block_count_y
      - .offset:         80
        .size:           4
        .value_kind:     hidden_block_count_z
      - .offset:         84
        .size:           2
        .value_kind:     hidden_group_size_x
      - .offset:         86
        .size:           2
        .value_kind:     hidden_group_size_y
      - .offset:         88
        .size:           2
        .value_kind:     hidden_group_size_z
      - .offset:         90
        .size:           2
        .value_kind:     hidden_remainder_x
      - .offset:         92
        .size:           2
        .value_kind:     hidden_remainder_y
      - .offset:         94
        .size:           2
        .value_kind:     hidden_remainder_z
      - .offset:         112
        .size:           8
        .value_kind:     hidden_global_offset_x
      - .offset:         120
        .size:           8
        .value_kind:     hidden_global_offset_y
      - .offset:         128
        .size:           8
        .value_kind:     hidden_global_offset_z
      - .offset:         136
        .size:           2
        .value_kind:     hidden_grid_dims
    .group_segment_fixed_size: 0
    .kernarg_segment_align: 8
    .kernarg_segment_size: 328
    .language:       OpenCL C
    .language_version:
      - 2
      - 0
    .max_flat_workgroup_size: 1024
    .name:           _ZN9rocsolver6v33100L8copy_matIdPdS2_NS0_7no_maskEEEviiT0_iilT1_iilT2_13rocblas_fill_17rocblas_diagonal_
    .private_segment_fixed_size: 0
    .sgpr_count:     24
    .sgpr_spill_count: 0
    .symbol:         _ZN9rocsolver6v33100L8copy_matIdPdS2_NS0_7no_maskEEEviiT0_iilT1_iilT2_13rocblas_fill_17rocblas_diagonal_.kd
    .uniform_work_group_size: 1
    .uses_dynamic_stack: false
    .vgpr_count:     6
    .vgpr_spill_count: 0
    .wavefront_size: 64
  - .args:
      - .offset:         0
        .size:           4
        .value_kind:     by_value
      - .offset:         4
        .size:           4
        .value_kind:     by_value
      - .address_space:  global
        .offset:         8
        .size:           8
        .value_kind:     global_buffer
      - .offset:         16
        .size:           4
        .value_kind:     by_value
      - .offset:         20
        .size:           4
        .value_kind:     by_value
      - .offset:         24
        .size:           8
        .value_kind:     by_value
      - .offset:         32
        .size:           4
        .value_kind:     by_value
      - .offset:         40
        .size:           4
        .value_kind:     hidden_block_count_x
      - .offset:         44
        .size:           4
        .value_kind:     hidden_block_count_y
      - .offset:         48
        .size:           4
        .value_kind:     hidden_block_count_z
      - .offset:         52
        .size:           2
        .value_kind:     hidden_group_size_x
      - .offset:         54
        .size:           2
        .value_kind:     hidden_group_size_y
      - .offset:         56
        .size:           2
        .value_kind:     hidden_group_size_z
      - .offset:         58
        .size:           2
        .value_kind:     hidden_remainder_x
      - .offset:         60
        .size:           2
        .value_kind:     hidden_remainder_y
      - .offset:         62
        .size:           2
        .value_kind:     hidden_remainder_z
      - .offset:         80
        .size:           8
        .value_kind:     hidden_global_offset_x
      - .offset:         88
        .size:           8
        .value_kind:     hidden_global_offset_y
      - .offset:         96
        .size:           8
        .value_kind:     hidden_global_offset_z
      - .offset:         104
        .size:           2
        .value_kind:     hidden_grid_dims
    .group_segment_fixed_size: 0
    .kernarg_segment_align: 8
    .kernarg_segment_size: 296
    .language:       OpenCL C
    .language_version:
      - 2
      - 0
    .max_flat_workgroup_size: 1024
    .name:           _ZN9rocsolver6v33100L8set_zeroI19rocblas_complex_numIfEPS3_EEviiT0_iil13rocblas_fill_
    .private_segment_fixed_size: 0
    .sgpr_count:     13
    .sgpr_spill_count: 0
    .symbol:         _ZN9rocsolver6v33100L8set_zeroI19rocblas_complex_numIfEPS3_EEviiT0_iil13rocblas_fill_.kd
    .uniform_work_group_size: 1
    .uses_dynamic_stack: false
    .vgpr_count:     4
    .vgpr_spill_count: 0
    .wavefront_size: 64
  - .args:
      - .offset:         0
        .size:           4
        .value_kind:     by_value
      - .offset:         4
        .size:           4
        .value_kind:     by_value
      - .address_space:  global
        .offset:         8
        .size:           8
        .value_kind:     global_buffer
      - .offset:         16
        .size:           4
        .value_kind:     by_value
      - .offset:         20
        .size:           4
        .value_kind:     by_value
      - .offset:         24
        .size:           8
        .value_kind:     by_value
      - .address_space:  global
        .offset:         32
        .size:           8
        .value_kind:     global_buffer
      - .offset:         40
        .size:           4
        .value_kind:     by_value
      - .offset:         44
        .size:           4
        .value_kind:     by_value
      - .offset:         48
        .size:           8
        .value_kind:     by_value
      - .offset:         56
        .size:           1
        .value_kind:     by_value
      - .offset:         60
        .size:           4
        .value_kind:     by_value
      - .offset:         64
        .size:           4
        .value_kind:     by_value
      - .offset:         72
        .size:           4
        .value_kind:     hidden_block_count_x
      - .offset:         76
        .size:           4
        .value_kind:     hidden_block_count_y
      - .offset:         80
        .size:           4
        .value_kind:     hidden_block_count_z
      - .offset:         84
        .size:           2
        .value_kind:     hidden_group_size_x
      - .offset:         86
        .size:           2
        .value_kind:     hidden_group_size_y
      - .offset:         88
        .size:           2
        .value_kind:     hidden_group_size_z
      - .offset:         90
        .size:           2
        .value_kind:     hidden_remainder_x
      - .offset:         92
        .size:           2
        .value_kind:     hidden_remainder_y
      - .offset:         94
        .size:           2
        .value_kind:     hidden_remainder_z
      - .offset:         112
        .size:           8
        .value_kind:     hidden_global_offset_x
      - .offset:         120
        .size:           8
        .value_kind:     hidden_global_offset_y
      - .offset:         128
        .size:           8
        .value_kind:     hidden_global_offset_z
      - .offset:         136
        .size:           2
        .value_kind:     hidden_grid_dims
    .group_segment_fixed_size: 0
    .kernarg_segment_align: 8
    .kernarg_segment_size: 328
    .language:       OpenCL C
    .language_version:
      - 2
      - 0
    .max_flat_workgroup_size: 1024
    .name:           _ZN9rocsolver6v33100L8copy_matI19rocblas_complex_numIfEPS3_S4_NS0_7no_maskEEEviiT0_iilT1_iilT2_13rocblas_fill_17rocblas_diagonal_
    .private_segment_fixed_size: 0
    .sgpr_count:     24
    .sgpr_spill_count: 0
    .symbol:         _ZN9rocsolver6v33100L8copy_matI19rocblas_complex_numIfEPS3_S4_NS0_7no_maskEEEviiT0_iilT1_iilT2_13rocblas_fill_17rocblas_diagonal_.kd
    .uniform_work_group_size: 1
    .uses_dynamic_stack: false
    .vgpr_count:     6
    .vgpr_spill_count: 0
    .wavefront_size: 64
  - .args:
      - .offset:         0
        .size:           4
        .value_kind:     by_value
      - .offset:         4
        .size:           4
        .value_kind:     by_value
      - .address_space:  global
        .offset:         8
        .size:           8
        .value_kind:     global_buffer
      - .offset:         16
        .size:           4
        .value_kind:     by_value
      - .offset:         20
        .size:           4
        .value_kind:     by_value
      - .offset:         24
        .size:           8
        .value_kind:     by_value
      - .offset:         32
        .size:           4
        .value_kind:     by_value
      - .offset:         40
        .size:           4
        .value_kind:     hidden_block_count_x
      - .offset:         44
        .size:           4
        .value_kind:     hidden_block_count_y
      - .offset:         48
        .size:           4
        .value_kind:     hidden_block_count_z
      - .offset:         52
        .size:           2
        .value_kind:     hidden_group_size_x
      - .offset:         54
        .size:           2
        .value_kind:     hidden_group_size_y
      - .offset:         56
        .size:           2
        .value_kind:     hidden_group_size_z
      - .offset:         58
        .size:           2
        .value_kind:     hidden_remainder_x
      - .offset:         60
        .size:           2
        .value_kind:     hidden_remainder_y
      - .offset:         62
        .size:           2
        .value_kind:     hidden_remainder_z
      - .offset:         80
        .size:           8
        .value_kind:     hidden_global_offset_x
      - .offset:         88
        .size:           8
        .value_kind:     hidden_global_offset_y
      - .offset:         96
        .size:           8
        .value_kind:     hidden_global_offset_z
      - .offset:         104
        .size:           2
        .value_kind:     hidden_grid_dims
    .group_segment_fixed_size: 0
    .kernarg_segment_align: 8
    .kernarg_segment_size: 296
    .language:       OpenCL C
    .language_version:
      - 2
      - 0
    .max_flat_workgroup_size: 1024
    .name:           _ZN9rocsolver6v33100L8set_zeroI19rocblas_complex_numIdEPS3_EEviiT0_iil13rocblas_fill_
    .private_segment_fixed_size: 0
    .sgpr_count:     13
    .sgpr_spill_count: 0
    .symbol:         _ZN9rocsolver6v33100L8set_zeroI19rocblas_complex_numIdEPS3_EEviiT0_iil13rocblas_fill_.kd
    .uniform_work_group_size: 1
    .uses_dynamic_stack: false
    .vgpr_count:     6
    .vgpr_spill_count: 0
    .wavefront_size: 64
  - .args:
      - .offset:         0
        .size:           4
        .value_kind:     by_value
      - .offset:         4
        .size:           4
        .value_kind:     by_value
      - .address_space:  global
        .offset:         8
        .size:           8
        .value_kind:     global_buffer
      - .offset:         16
        .size:           4
        .value_kind:     by_value
      - .offset:         20
        .size:           4
        .value_kind:     by_value
      - .offset:         24
        .size:           8
        .value_kind:     by_value
      - .address_space:  global
        .offset:         32
        .size:           8
        .value_kind:     global_buffer
      - .offset:         40
        .size:           4
        .value_kind:     by_value
      - .offset:         44
        .size:           4
        .value_kind:     by_value
      - .offset:         48
        .size:           8
        .value_kind:     by_value
      - .offset:         56
        .size:           1
        .value_kind:     by_value
      - .offset:         60
        .size:           4
        .value_kind:     by_value
      - .offset:         64
        .size:           4
        .value_kind:     by_value
      - .offset:         72
        .size:           4
        .value_kind:     hidden_block_count_x
      - .offset:         76
        .size:           4
        .value_kind:     hidden_block_count_y
      - .offset:         80
        .size:           4
        .value_kind:     hidden_block_count_z
      - .offset:         84
        .size:           2
        .value_kind:     hidden_group_size_x
      - .offset:         86
        .size:           2
        .value_kind:     hidden_group_size_y
      - .offset:         88
        .size:           2
        .value_kind:     hidden_group_size_z
      - .offset:         90
        .size:           2
        .value_kind:     hidden_remainder_x
      - .offset:         92
        .size:           2
        .value_kind:     hidden_remainder_y
      - .offset:         94
        .size:           2
        .value_kind:     hidden_remainder_z
      - .offset:         112
        .size:           8
        .value_kind:     hidden_global_offset_x
      - .offset:         120
        .size:           8
        .value_kind:     hidden_global_offset_y
      - .offset:         128
        .size:           8
        .value_kind:     hidden_global_offset_z
      - .offset:         136
        .size:           2
        .value_kind:     hidden_grid_dims
    .group_segment_fixed_size: 0
    .kernarg_segment_align: 8
    .kernarg_segment_size: 328
    .language:       OpenCL C
    .language_version:
      - 2
      - 0
    .max_flat_workgroup_size: 1024
    .name:           _ZN9rocsolver6v33100L8copy_matI19rocblas_complex_numIdEPS3_S4_NS0_7no_maskEEEviiT0_iilT1_iilT2_13rocblas_fill_17rocblas_diagonal_
    .private_segment_fixed_size: 0
    .sgpr_count:     24
    .sgpr_spill_count: 0
    .symbol:         _ZN9rocsolver6v33100L8copy_matI19rocblas_complex_numIdEPS3_S4_NS0_7no_maskEEEviiT0_iilT1_iilT2_13rocblas_fill_17rocblas_diagonal_.kd
    .uniform_work_group_size: 1
    .uses_dynamic_stack: false
    .vgpr_count:     7
    .vgpr_spill_count: 0
    .wavefront_size: 64
amdhsa.target:   amdgcn-amd-amdhsa--gfx906
amdhsa.version:
  - 1
  - 2
...

	.end_amdgpu_metadata
